;; amdgpu-corpus repo=ROCm/rocFFT kind=compiled arch=gfx950 opt=O3
	.text
	.amdgcn_target "amdgcn-amd-amdhsa--gfx950"
	.amdhsa_code_object_version 6
	.protected	fft_rtc_fwd_len847_factors_11_7_11_wgs_231_tpt_77_halfLds_sp_op_CI_CI_sbrr_dirReg ; -- Begin function fft_rtc_fwd_len847_factors_11_7_11_wgs_231_tpt_77_halfLds_sp_op_CI_CI_sbrr_dirReg
	.globl	fft_rtc_fwd_len847_factors_11_7_11_wgs_231_tpt_77_halfLds_sp_op_CI_CI_sbrr_dirReg
	.p2align	8
	.type	fft_rtc_fwd_len847_factors_11_7_11_wgs_231_tpt_77_halfLds_sp_op_CI_CI_sbrr_dirReg,@function
fft_rtc_fwd_len847_factors_11_7_11_wgs_231_tpt_77_halfLds_sp_op_CI_CI_sbrr_dirReg: ; @fft_rtc_fwd_len847_factors_11_7_11_wgs_231_tpt_77_halfLds_sp_op_CI_CI_sbrr_dirReg
; %bb.0:
	s_load_dwordx4 s[12:15], s[0:1], 0x18
	s_load_dwordx4 s[4:7], s[0:1], 0x0
	;; [unrolled: 1-line block ×3, first 2 shown]
	v_mul_u32_u24_e32 v1, 0x354, v0
	v_lshrrev_b32_e32 v2, 16, v1
	s_waitcnt lgkmcnt(0)
	s_load_dwordx2 s[18:19], s[12:13], 0x0
	s_load_dwordx2 s[16:17], s[14:15], 0x0
	v_mad_u64_u32 v[8:9], s[2:3], s2, 3, v[2:3]
	v_mov_b32_e32 v6, 0
	v_mov_b32_e32 v9, v6
	v_cmp_lt_u64_e64 s[2:3], s[6:7], 2
	v_mov_b64_e32 v[24:25], 0
	s_and_b64 vcc, exec, s[2:3]
	v_mov_b64_e32 v[2:3], v[24:25]
	v_mov_b64_e32 v[4:5], v[8:9]
	s_cbranch_vccnz .LBB0_8
; %bb.1:
	s_load_dwordx2 s[2:3], s[0:1], 0x10
	s_add_u32 s20, s14, 8
	s_addc_u32 s21, s15, 0
	s_add_u32 s22, s12, 8
	s_addc_u32 s23, s13, 0
	s_waitcnt lgkmcnt(0)
	s_add_u32 s24, s2, 8
	v_mov_b64_e32 v[24:25], 0
	s_addc_u32 s25, s3, 0
	s_mov_b64 s[26:27], 1
	v_mov_b64_e32 v[2:3], v[24:25]
	v_mov_b64_e32 v[10:11], v[8:9]
.LBB0_2:                                ; =>This Inner Loop Header: Depth=1
	s_load_dwordx2 s[28:29], s[24:25], 0x0
                                        ; implicit-def: $vgpr4_vgpr5
	s_waitcnt lgkmcnt(0)
	v_or_b32_e32 v7, s29, v11
	v_cmp_ne_u64_e32 vcc, 0, v[6:7]
	s_and_saveexec_b64 s[2:3], vcc
	s_xor_b64 s[30:31], exec, s[2:3]
	s_cbranch_execz .LBB0_4
; %bb.3:                                ;   in Loop: Header=BB0_2 Depth=1
	v_cvt_f32_u32_e32 v1, s28
	v_cvt_f32_u32_e32 v4, s29
	s_sub_u32 s2, 0, s28
	s_subb_u32 s3, 0, s29
	v_fmac_f32_e32 v1, 0x4f800000, v4
	v_rcp_f32_e32 v1, v1
	s_nop 0
	v_mul_f32_e32 v1, 0x5f7ffffc, v1
	v_mul_f32_e32 v4, 0x2f800000, v1
	v_trunc_f32_e32 v4, v4
	v_fmac_f32_e32 v1, 0xcf800000, v4
	v_cvt_u32_f32_e32 v7, v4
	v_cvt_u32_f32_e32 v1, v1
	v_mul_lo_u32 v4, s2, v7
	v_mul_hi_u32 v9, s2, v1
	v_mul_lo_u32 v5, s3, v1
	v_add_u32_e32 v9, v9, v4
	v_mul_lo_u32 v14, s2, v1
	v_add_u32_e32 v9, v9, v5
	v_mul_hi_u32 v4, v1, v14
	v_mul_hi_u32 v13, v1, v9
	v_mul_lo_u32 v12, v1, v9
	v_mov_b32_e32 v5, v6
	v_lshl_add_u64 v[4:5], v[4:5], 0, v[12:13]
	v_mul_hi_u32 v13, v7, v14
	v_mul_lo_u32 v14, v7, v14
	v_add_co_u32_e32 v4, vcc, v4, v14
	v_mul_hi_u32 v12, v7, v9
	s_nop 0
	v_addc_co_u32_e32 v4, vcc, v5, v13, vcc
	v_mov_b32_e32 v5, v6
	s_nop 0
	v_addc_co_u32_e32 v13, vcc, 0, v12, vcc
	v_mul_lo_u32 v12, v7, v9
	v_lshl_add_u64 v[4:5], v[4:5], 0, v[12:13]
	v_add_co_u32_e32 v1, vcc, v1, v4
	v_mul_lo_u32 v12, s2, v1
	s_nop 0
	v_addc_co_u32_e32 v7, vcc, v7, v5, vcc
	v_mul_lo_u32 v4, s2, v7
	v_mul_hi_u32 v5, s2, v1
	v_add_u32_e32 v4, v5, v4
	v_mul_lo_u32 v5, s3, v1
	v_add_u32_e32 v9, v4, v5
	v_mul_hi_u32 v15, v7, v12
	v_mul_lo_u32 v16, v7, v12
	v_mul_hi_u32 v5, v1, v9
	v_mul_lo_u32 v4, v1, v9
	v_mul_hi_u32 v12, v1, v12
	v_mov_b32_e32 v13, v6
	v_lshl_add_u64 v[4:5], v[12:13], 0, v[4:5]
	v_add_co_u32_e32 v4, vcc, v4, v16
	v_mul_hi_u32 v14, v7, v9
	s_nop 0
	v_addc_co_u32_e32 v4, vcc, v5, v15, vcc
	v_mul_lo_u32 v12, v7, v9
	s_nop 0
	v_addc_co_u32_e32 v13, vcc, 0, v14, vcc
	v_mov_b32_e32 v5, v6
	v_lshl_add_u64 v[4:5], v[4:5], 0, v[12:13]
	v_add_co_u32_e32 v1, vcc, v1, v4
	v_mul_hi_u32 v12, v10, v1
	s_nop 0
	v_addc_co_u32_e32 v7, vcc, v7, v5, vcc
	v_mad_u64_u32 v[4:5], s[2:3], v10, v7, 0
	v_mov_b32_e32 v13, v6
	v_lshl_add_u64 v[4:5], v[12:13], 0, v[4:5]
	v_mad_u64_u32 v[14:15], s[2:3], v11, v1, 0
	v_add_co_u32_e32 v1, vcc, v4, v14
	v_mad_u64_u32 v[12:13], s[2:3], v11, v7, 0
	s_nop 0
	v_addc_co_u32_e32 v4, vcc, v5, v15, vcc
	v_mov_b32_e32 v5, v6
	s_nop 0
	v_addc_co_u32_e32 v13, vcc, 0, v13, vcc
	v_lshl_add_u64 v[4:5], v[4:5], 0, v[12:13]
	v_mul_lo_u32 v1, s29, v4
	v_mul_lo_u32 v7, s28, v5
	v_mad_u64_u32 v[12:13], s[2:3], s28, v4, 0
	v_add3_u32 v1, v13, v7, v1
	v_sub_u32_e32 v7, v11, v1
	v_mov_b32_e32 v9, s29
	v_sub_co_u32_e32 v16, vcc, v10, v12
	v_lshl_add_u64 v[14:15], v[4:5], 0, 1
	s_nop 0
	v_subb_co_u32_e64 v7, s[2:3], v7, v9, vcc
	v_subrev_co_u32_e64 v9, s[2:3], s28, v16
	v_subb_co_u32_e32 v1, vcc, v11, v1, vcc
	s_nop 0
	v_subbrev_co_u32_e64 v7, s[2:3], 0, v7, s[2:3]
	v_cmp_le_u32_e64 s[2:3], s29, v7
	v_cmp_le_u32_e32 vcc, s29, v1
	s_nop 0
	v_cndmask_b32_e64 v12, 0, -1, s[2:3]
	v_cmp_le_u32_e64 s[2:3], s28, v9
	s_nop 1
	v_cndmask_b32_e64 v9, 0, -1, s[2:3]
	v_cmp_eq_u32_e64 s[2:3], s29, v7
	s_nop 1
	v_cndmask_b32_e64 v7, v12, v9, s[2:3]
	v_lshl_add_u64 v[12:13], v[4:5], 0, 2
	v_cmp_ne_u32_e64 s[2:3], 0, v7
	v_cndmask_b32_e64 v9, 0, -1, vcc
	v_cmp_le_u32_e32 vcc, s28, v16
	v_cndmask_b32_e64 v7, v15, v13, s[2:3]
	s_nop 0
	v_cndmask_b32_e64 v13, 0, -1, vcc
	v_cmp_eq_u32_e32 vcc, s29, v1
	s_nop 1
	v_cndmask_b32_e32 v1, v9, v13, vcc
	v_cmp_ne_u32_e32 vcc, 0, v1
	v_cndmask_b32_e64 v1, v14, v12, s[2:3]
	s_nop 0
	v_cndmask_b32_e32 v5, v5, v7, vcc
	v_cndmask_b32_e32 v4, v4, v1, vcc
.LBB0_4:                                ;   in Loop: Header=BB0_2 Depth=1
	s_andn2_saveexec_b64 s[2:3], s[30:31]
	s_cbranch_execz .LBB0_6
; %bb.5:                                ;   in Loop: Header=BB0_2 Depth=1
	v_cvt_f32_u32_e32 v1, s28
	s_sub_i32 s30, 0, s28
	v_rcp_iflag_f32_e32 v1, v1
	s_nop 0
	v_mul_f32_e32 v1, 0x4f7ffffe, v1
	v_cvt_u32_f32_e32 v1, v1
	v_mul_lo_u32 v4, s30, v1
	v_mul_hi_u32 v4, v1, v4
	v_add_u32_e32 v1, v1, v4
	v_mul_hi_u32 v1, v10, v1
	v_mul_lo_u32 v4, v1, s28
	v_sub_u32_e32 v4, v10, v4
	v_add_u32_e32 v5, 1, v1
	v_subrev_u32_e32 v7, s28, v4
	v_cmp_le_u32_e32 vcc, s28, v4
	s_nop 1
	v_cndmask_b32_e32 v4, v4, v7, vcc
	v_cndmask_b32_e32 v1, v1, v5, vcc
	v_add_u32_e32 v5, 1, v1
	v_cmp_le_u32_e32 vcc, s28, v4
	s_nop 1
	v_cndmask_b32_e32 v4, v1, v5, vcc
	v_mov_b32_e32 v5, v6
.LBB0_6:                                ;   in Loop: Header=BB0_2 Depth=1
	s_or_b64 exec, exec, s[2:3]
	v_mad_u64_u32 v[12:13], s[2:3], v4, s28, 0
	s_load_dwordx2 s[2:3], s[22:23], 0x0
	s_add_u32 s26, s26, 1
	v_mul_lo_u32 v1, v5, s28
	v_mul_lo_u32 v7, v4, s29
	s_load_dwordx2 s[28:29], s[20:21], 0x0
	s_addc_u32 s27, s27, 0
	v_add3_u32 v1, v13, v7, v1
	v_sub_co_u32_e32 v7, vcc, v10, v12
	s_add_u32 s20, s20, 8
	s_nop 0
	v_subb_co_u32_e32 v1, vcc, v11, v1, vcc
	s_addc_u32 s21, s21, 0
	s_waitcnt lgkmcnt(0)
	v_mul_lo_u32 v9, s2, v1
	v_mul_lo_u32 v10, s3, v7
	v_mad_u64_u32 v[24:25], s[2:3], s2, v7, v[24:25]
	s_add_u32 s22, s22, 8
	v_add3_u32 v25, v10, v25, v9
	s_addc_u32 s23, s23, 0
	v_mov_b64_e32 v[10:11], s[6:7]
	v_mul_lo_u32 v1, s28, v1
	v_mul_lo_u32 v9, s29, v7
	v_mad_u64_u32 v[2:3], s[2:3], s28, v7, v[2:3]
	s_add_u32 s24, s24, 8
	v_cmp_ge_u64_e32 vcc, s[26:27], v[10:11]
	v_add3_u32 v3, v9, v3, v1
	s_addc_u32 s25, s25, 0
	s_cbranch_vccnz .LBB0_8
; %bb.7:                                ;   in Loop: Header=BB0_2 Depth=1
	v_mov_b64_e32 v[10:11], v[4:5]
	s_branch .LBB0_2
.LBB0_8:
	s_load_dwordx2 s[0:1], s[0:1], 0x28
	s_lshl_b64 s[6:7], s[6:7], 3
	s_add_u32 s2, s14, s6
	s_addc_u32 s3, s15, s7
                                        ; implicit-def: $sgpr14_sgpr15
                                        ; implicit-def: $sgpr20
                                        ; implicit-def: $vgpr42
                                        ; implicit-def: $vgpr43
	s_waitcnt lgkmcnt(0)
	v_cmp_gt_u64_e32 vcc, s[0:1], v[4:5]
	v_cmp_le_u64_e64 s[0:1], s[0:1], v[4:5]
	s_and_saveexec_b64 s[22:23], s[0:1]
	s_xor_b64 s[0:1], exec, s[22:23]
; %bb.9:
	s_mov_b32 s14, 0x3531ded
	v_mul_hi_u32 v1, v0, s14
	v_mul_u32_u24_e32 v1, 0x4d, v1
	v_sub_u32_e32 v42, v0, v1
	v_add_u32_e32 v43, 0x4d, v42
	s_mov_b32 s20, 0
	s_mov_b64 s[14:15], 0
                                        ; implicit-def: $vgpr0
                                        ; implicit-def: $vgpr24_vgpr25
; %bb.10:
	s_or_saveexec_b64 s[0:1], s[0:1]
	v_mov_b32_e32 v44, s20
	v_mov_b64_e32 v[6:7], s[14:15]
                                        ; implicit-def: $vgpr18
                                        ; implicit-def: $vgpr17
                                        ; implicit-def: $vgpr36
                                        ; implicit-def: $vgpr22
                                        ; implicit-def: $vgpr26
                                        ; implicit-def: $vgpr10
                                        ; implicit-def: $vgpr12
                                        ; implicit-def: $vgpr32
                                        ; implicit-def: $vgpr14
                                        ; implicit-def: $vgpr38
                                        ; implicit-def: $vgpr20
	s_xor_b64 exec, exec, s[0:1]
	s_cbranch_execz .LBB0_12
; %bb.11:
	s_add_u32 s6, s12, s6
	s_addc_u32 s7, s13, s7
	s_load_dwordx2 s[6:7], s[6:7], 0x0
	s_mov_b32 s12, 0x3531ded
	s_waitcnt lgkmcnt(0)
	v_mul_lo_u32 v1, s7, v4
	v_mul_lo_u32 v9, s6, v5
	v_mad_u64_u32 v[6:7], s[6:7], s6, v4, 0
	v_add3_u32 v7, v7, v9, v1
	v_mul_hi_u32 v1, v0, s12
	v_mul_u32_u24_e32 v1, 0x4d, v1
	v_sub_u32_e32 v42, v0, v1
	v_mad_u64_u32 v[0:1], s[6:7], s18, v42, 0
	v_mov_b32_e32 v10, v1
	v_lshl_add_u64 v[6:7], v[6:7], 3, s[8:9]
	v_add_u32_e32 v43, 0x4d, v42
	v_mad_u64_u32 v[10:11], s[6:7], s19, v42, v[10:11]
	v_lshl_add_u64 v[20:21], v[24:25], 3, v[6:7]
	v_mad_u64_u32 v[6:7], s[6:7], s18, v43, 0
	v_mov_b32_e32 v1, v10
	v_mov_b32_e32 v10, v7
	v_mad_u64_u32 v[10:11], s[6:7], s19, v43, v[10:11]
	v_mov_b32_e32 v7, v10
	v_add_u32_e32 v9, 0x9a, v42
	v_lshl_add_u64 v[10:11], v[6:7], 3, v[20:21]
	v_mad_u64_u32 v[6:7], s[6:7], s18, v9, 0
	v_mov_b32_e32 v12, v7
	v_mad_u64_u32 v[12:13], s[6:7], s19, v9, v[12:13]
	v_mov_b32_e32 v7, v12
	v_add_u32_e32 v9, 0xe7, v42
	v_lshl_add_u64 v[12:13], v[6:7], 3, v[20:21]
	v_mad_u64_u32 v[6:7], s[6:7], s18, v9, 0
	v_mov_b32_e32 v14, v7
	v_mad_u64_u32 v[14:15], s[6:7], s19, v9, v[14:15]
	v_lshl_add_u64 v[0:1], v[0:1], 3, v[20:21]
	v_mov_b32_e32 v7, v14
	v_add_u32_e32 v9, 0x134, v42
	v_lshl_add_u64 v[22:23], v[6:7], 3, v[20:21]
	global_load_dwordx2 v[6:7], v[0:1], off
	global_load_dwordx2 v[18:19], v[10:11], off
	;; [unrolled: 1-line block ×4, first 2 shown]
	v_mad_u64_u32 v[0:1], s[6:7], s18, v9, 0
	v_mov_b32_e32 v10, v1
	v_mad_u64_u32 v[10:11], s[6:7], s19, v9, v[10:11]
	v_add_u32_e32 v9, 0x181, v42
	v_mov_b32_e32 v1, v10
	v_mad_u64_u32 v[10:11], s[6:7], s18, v9, 0
	v_mov_b32_e32 v12, v11
	v_mad_u64_u32 v[12:13], s[6:7], s19, v9, v[12:13]
	v_mov_b32_e32 v11, v12
	v_add_u32_e32 v9, 0x1ce, v42
	v_lshl_add_u64 v[22:23], v[10:11], 3, v[20:21]
	v_mad_u64_u32 v[10:11], s[6:7], s18, v9, 0
	v_mov_b32_e32 v12, v11
	v_mad_u64_u32 v[12:13], s[6:7], s19, v9, v[12:13]
	v_mov_b32_e32 v11, v12
	v_add_u32_e32 v9, 0x21b, v42
	v_lshl_add_u64 v[24:25], v[10:11], 3, v[20:21]
	v_mad_u64_u32 v[10:11], s[6:7], s18, v9, 0
	v_mov_b32_e32 v12, v11
	v_mad_u64_u32 v[12:13], s[6:7], s19, v9, v[12:13]
	v_lshl_add_u64 v[0:1], v[0:1], 3, v[20:21]
	v_mov_b32_e32 v11, v12
	v_add_u32_e32 v9, 0x268, v42
	v_lshl_add_u64 v[26:27], v[10:11], 3, v[20:21]
	global_load_dwordx2 v[28:29], v[0:1], off
	global_load_dwordx2 v[10:11], v[22:23], off
	;; [unrolled: 1-line block ×4, first 2 shown]
	v_mad_u64_u32 v[0:1], s[6:7], s18, v9, 0
	v_mov_b32_e32 v22, v1
	v_mad_u64_u32 v[22:23], s[6:7], s19, v9, v[22:23]
	v_add_u32_e32 v9, 0x2b5, v42
	v_mov_b32_e32 v1, v22
	v_mad_u64_u32 v[22:23], s[6:7], s18, v9, 0
	v_mov_b32_e32 v24, v23
	v_mad_u64_u32 v[24:25], s[6:7], s19, v9, v[24:25]
	v_add_u32_e32 v9, 0x302, v42
	v_mov_b32_e32 v23, v24
	v_mad_u64_u32 v[24:25], s[6:7], s18, v9, 0
	v_mov_b32_e32 v26, v25
	v_mad_u64_u32 v[26:27], s[6:7], s19, v9, v[26:27]
	v_lshl_add_u64 v[0:1], v[0:1], 3, v[20:21]
	v_mov_b32_e32 v25, v26
	v_lshl_add_u64 v[22:23], v[22:23], 3, v[20:21]
	global_load_dwordx2 v[38:39], v[0:1], off
	global_load_dwordx2 v[34:35], v[22:23], off
	v_lshl_add_u64 v[0:1], v[24:25], 3, v[20:21]
	global_load_dwordx2 v[20:21], v[0:1], off
	v_mov_b32_e32 v44, v42
	s_waitcnt vmcnt(9)
	v_mov_b32_e32 v37, v19
	s_waitcnt vmcnt(7)
	v_mov_b32_e32 v36, v15
	v_mov_b32_e32 v15, v16
	s_waitcnt vmcnt(6)
	v_mov_b32_e32 v23, v29
	s_waitcnt vmcnt(5)
	;; [unrolled: 2-line block ×4, first 2 shown]
	v_mov_b32_e32 v27, v31
	v_mov_b32_e32 v11, v28
	;; [unrolled: 1-line block ×3, first 2 shown]
	s_waitcnt vmcnt(2)
	v_mov_b32_e32 v32, v39
	s_waitcnt vmcnt(1)
	v_mov_b32_e32 v33, v35
	v_mov_b32_e32 v39, v34
.LBB0_12:
	s_or_b64 exec, exec, s[0:1]
	s_mov_b32 s0, 0xaaaaaaab
	v_mul_hi_u32 v0, v8, s0
	v_lshrrev_b32_e32 v0, 1, v0
	v_lshl_add_u32 v0, v0, 1, v0
	v_sub_u32_e32 v0, v8, v0
	v_mul_u32_u24_e32 v68, 0x34f, v0
	v_add_f32_e32 v0, v18, v6
	v_mov_b32_e32 v19, v37
	v_add_f32_e32 v0, v15, v0
	s_waitcnt vmcnt(0)
	v_pk_add_f32 v[24:25], v[36:37], v[20:21] neg_lo:[0,1] neg_hi:[0,1]
	v_pk_add_f32 v[8:9], v[18:19], v[20:21]
	v_add_f32_e32 v0, v14, v0
	v_mov_b32_e32 v28, v25
	v_mov_b32_e32 v29, v8
	s_mov_b32 s9, 0x3f575c64
	s_mov_b32 s8, 0xbf0a6770
	v_add_f32_e32 v0, v11, v0
	v_pk_mul_f32 v[30:31], v[28:29], s[8:9]
	s_mov_b32 s7, 0x3ed4b147
	s_mov_b32 s12, 0xbe11bafb
	;; [unrolled: 1-line block ×3, first 2 shown]
	v_add_f32_e32 v0, v10, v0
	v_mov_b32_e32 v1, v30
	s_mov_b32 s22, 0xbf68dda4
	s_mov_b32 s23, s7
	s_mov_b32 s0, s15
	s_mov_b32 s1, s12
	v_pk_add_f32 v[40:41], v[14:15], v[38:39]
	v_mov_b32_e32 v16, v36
	s_mov_b32 s13, s7
	v_pk_fma_f32 v[34:35], v[28:29], s[8:9], v[0:1] neg_lo:[0,0,1] neg_hi:[0,0,1]
	v_add_f32_e32 v1, v30, v31
	v_pk_mul_f32 v[30:31], v[28:29], s[22:23]
	v_pk_mul_f32 v[28:29], v[28:29], s[0:1]
	v_pk_add_f32 v[46:47], v[16:17], v[32:33] neg_lo:[0,1] neg_hi:[0,1]
	v_pk_mul_f32 v[52:53], v[40:41], s[12:13]
	s_mov_b32 s1, s22
	v_add_f32_e32 v1, v1, v6
	s_mov_b32 s19, 0xbf75a155
	s_mov_b32 s18, s7
	v_pk_fma_f32 v[54:55], v[46:47], s[0:1], v[52:53] neg_lo:[1,0,0] neg_hi:[1,0,0]
	v_pk_fma_f32 v[52:53], v[46:47], s[0:1], v[52:53]
	v_pk_mul_f32 v[48:49], v[40:41], s[18:19]
	v_add_f32_e32 v1, v53, v1
	s_mov_b32 s18, 0xbf27a4f4
	s_mov_b32 s24, 0xbf4178ce
	v_add_f32_e32 v19, v52, v1
	s_mov_b32 s0, s19
	s_mov_b32 s1, s18
	;; [unrolled: 1-line block ×3, first 2 shown]
	v_pk_add_f32 v[58:59], v[10:11], v[12:13]
	v_mov_b32_e32 v1, v35
	v_mov_b32_e32 v34, v12
	;; [unrolled: 1-line block ×3, first 2 shown]
	v_pk_mul_f32 v[52:53], v[40:41], s[0:1]
	v_pk_add_f32 v[60:61], v[22:23], v[26:27] neg_lo:[0,1] neg_hi:[0,1]
	v_pk_mul_f32 v[62:63], v[58:59], s[0:1]
	s_mov_b32 s0, s25
	s_mov_b32 s1, s24
	v_pk_add_f32 v[0:1], v[34:35], v[0:1]
	v_mov_b32_e32 v34, v13
	v_mov_b32_e32 v35, v55
	v_pk_add_f32 v[0:1], v[34:35], v[0:1]
	v_pk_fma_f32 v[34:35], v[60:61], s[0:1], v[62:63] neg_lo:[1,0,0] neg_hi:[1,0,0]
	v_mov_b32_e32 v55, v54
	v_mov_b32_e32 v54, v38
	v_pk_add_f32 v[0:1], v[54:55], v[0:1]
	v_mov_b32_e32 v54, v39
	v_mov_b32_e32 v55, v35
	s_mov_b32 s27, 0x3e903f40
	s_mov_b32 s21, 0x3f68dda4
	v_pk_add_f32 v[0:1], v[54:55], v[0:1]
	v_lshl_add_u32 v45, v68, 2, 0
	v_mov_b32_e32 v35, v34
	v_mov_b32_e32 v34, v20
	s_mov_b32 s26, s21
	s_mov_b32 s28, s27
	;; [unrolled: 1-line block ×3, first 2 shown]
	v_mad_u32_u24 v16, v42, 44, v45
	v_pk_add_f32 v[0:1], v[34:35], v[0:1]
	v_pk_mul_f32 v[50:51], v[46:47], s[26:27]
	v_pk_mul_f32 v[56:57], v[46:47], s[28:29]
	ds_write2_b32 v16, v0, v1 offset1:1
	v_mov_b32_e32 v0, v31
	v_mov_b32_e32 v1, v29
	;; [unrolled: 1-line block ×4, first 2 shown]
	v_pk_add_f32 v[0:1], v[0:1], v[34:35] neg_lo:[0,1] neg_hi:[0,1]
	v_mov_b32_e32 v34, v53
	v_mov_b32_e32 v35, v49
	;; [unrolled: 1-line block ×4, first 2 shown]
	v_pk_add_f32 v[34:35], v[34:35], v[54:55] neg_lo:[0,1] neg_hi:[0,1]
	v_pk_add_f32 v[0:1], v[0:1], v[6:7] op_sel_hi:[1,0]
	v_mov_b32_e32 v57, v50
	v_pk_add_f32 v[0:1], v[34:35], v[0:1]
	v_pk_fma_f32 v[34:35], v[46:47], s[28:29], v[52:53]
	s_mov_b32 s28, s9
	s_mov_b32 s29, s12
	v_pk_mul_f32 v[50:51], v[58:59], s[28:29]
	s_mov_b32 s28, 0x3f7d64f0
	s_mov_b32 s29, 0x3f0a6770
	;; [unrolled: 1-line block ×6, first 2 shown]
	v_mov_b32_e32 v53, v48
	s_mov_b32 s36, s24
	s_mov_b32 s37, s8
	v_pk_add_f32 v[52:53], v[52:53], v[56:57] neg_lo:[0,1] neg_hi:[0,1]
	v_pk_mul_f32 v[54:55], v[58:59], s[34:35]
	v_pk_mul_f32 v[56:57], v[60:61], s[30:31]
	;; [unrolled: 1-line block ×3, first 2 shown]
	v_pk_add_f32 v[0:1], v[52:53], v[0:1]
	v_mov_b32_e32 v52, v51
	v_mov_b32_e32 v53, v55
	v_mov_b32_e32 v66, v57
	v_mov_b32_e32 v67, v65
	v_pk_add_f32 v[52:53], v[52:53], v[66:67] neg_lo:[0,1] neg_hi:[0,1]
	v_mov_b32_e32 v57, v64
	v_pk_add_f32 v[0:1], v[52:53], v[0:1]
	v_pk_fma_f32 v[52:53], v[60:61], s[30:31], v[50:51]
	v_mov_b32_e32 v51, v54
	v_pk_add_f32 v[50:51], v[50:51], v[56:57] neg_lo:[0,1] neg_hi:[0,1]
	s_mov_b32 s13, s9
	v_pk_add_f32 v[0:1], v[50:51], v[0:1]
	ds_write2_b32 v16, v0, v1 offset0:2 offset1:3
	v_pk_mul_f32 v[0:1], v[8:9], s[18:19] op_sel_hi:[0,1]
	v_pk_fma_f32 v[8:9], v[24:25], s[24:25], v[0:1] op_sel:[1,0,0] neg_lo:[1,0,0] neg_hi:[1,0,0]
	v_pk_mul_f32 v[50:51], v[40:41], s[12:13] op_sel:[1,0]
	s_mov_b32 s30, s9
	s_mov_b32 s31, s18
	v_pk_add_f32 v[8:9], v[8:9], v[6:7] op_sel_hi:[1,0]
	v_pk_fma_f32 v[56:57], v[46:47], s[28:29], v[50:51] op_sel:[1,0,0] neg_lo:[1,0,0] neg_hi:[1,0,0]
	v_pk_mul_f32 v[40:41], v[40:41], s[30:31] op_sel_hi:[0,1]
	s_mov_b32 s9, s24
	v_pk_fma_f32 v[0:1], v[24:25], s[24:25], v[0:1] op_sel:[1,0,0]
	v_pk_add_f32 v[8:9], v[56:57], v[8:9]
	v_pk_fma_f32 v[56:57], v[46:47], s[8:9], v[40:41] op_sel_hi:[0,1,1] neg_lo:[1,0,0] neg_hi:[1,0,0]
	s_mov_b32 s6, s19
	v_pk_add_f32 v[0:1], v[0:1], v[6:7] op_sel_hi:[1,0]
	v_pk_fma_f32 v[24:25], v[46:47], s[28:29], v[50:51] op_sel:[1,0,0]
	v_pk_add_f32 v[8:9], v[56:57], v[8:9]
	s_mov_b32 s20, s25
	v_pk_mul_f32 v[56:57], v[58:59], s[6:7] op_sel:[1,0]
	s_mov_b32 s34, s7
	s_mov_b32 s35, s12
	v_pk_add_f32 v[0:1], v[24:25], v[0:1]
	v_pk_fma_f32 v[24:25], v[46:47], s[8:9], v[40:41] op_sel_hi:[0,1,1]
	v_pk_mul_f32 v[58:59], v[58:59], s[34:35] op_sel_hi:[0,1]
	s_mov_b32 s14, s21
	v_pk_add_f32 v[0:1], v[24:25], v[0:1]
	v_pk_fma_f32 v[24:25], v[60:61], s[20:21], v[56:57] op_sel:[1,0,0]
	v_pk_fma_f32 v[64:65], v[60:61], s[20:21], v[56:57] op_sel:[1,0,0] neg_lo:[1,0,0] neg_hi:[1,0,0]
	v_pk_add_f32 v[0:1], v[24:25], v[0:1]
	v_pk_fma_f32 v[24:25], v[60:61], s[14:15], v[58:59] op_sel_hi:[0,1,1]
	v_pk_add_f32 v[0:1], v[24:25], v[0:1]
	v_mov_b32_e32 v24, v28
	v_mov_b32_e32 v25, v30
	;; [unrolled: 1-line block ×3, first 2 shown]
	v_pk_fma_f32 v[48:49], v[46:47], s[26:27], v[48:49]
	v_pk_add_f32 v[24:25], v[24:25], v[30:31]
	v_pk_add_f32 v[8:9], v[64:65], v[8:9]
	v_pk_fma_f32 v[64:65], v[60:61], s[14:15], v[58:59] op_sel_hi:[0,1,1] neg_lo:[1,0,0] neg_hi:[1,0,0]
	v_pk_add_f32 v[24:25], v[24:25], v[6:7] op_sel_hi:[1,0]
	v_mov_b32_e32 v28, v49
	v_mov_b32_e32 v29, v35
	v_pk_add_f32 v[8:9], v[64:65], v[8:9]
	v_pk_fma_f32 v[54:55], v[60:61], s[36:37], v[54:55]
	v_pk_add_f32 v[24:25], v[28:29], v[24:25]
	v_mov_b32_e32 v49, v34
	ds_write2_b32 v16, v8, v9 offset0:4 offset1:5
	v_pk_fma_f32 v[8:9], v[60:61], s[0:1], v[62:63]
	v_pk_add_f32 v[24:25], v[48:49], v[24:25]
	v_mov_b32_e32 v28, v55
	v_mov_b32_e32 v29, v53
	s_movk_i32 s0, 0xffd8
	ds_write2_b32 v16, v1, v0 offset0:6 offset1:7
	v_pk_add_f32 v[24:25], v[28:29], v[24:25]
	v_mov_b32_e32 v55, v52
	v_mad_i32_i24 v1, v42, s0, v16
	v_add_f32_e32 v9, v9, v19
	v_pk_add_f32 v[24:25], v[54:55], v[24:25]
	v_lshl_add_u32 v45, v42, 2, v45
	v_add_u32_e32 v19, 0x400, v1
	v_add_u32_e32 v49, 0x800, v1
	s_load_dwordx2 s[2:3], s[2:3], 0x0
	v_add_f32_e32 v8, v8, v9
	ds_write2_b32 v16, v24, v25 offset0:8 offset1:9
	ds_write_b32 v16, v8 offset:40
	s_waitcnt lgkmcnt(0)
	s_barrier
	ds_read_b32 v48, v45
	ds_read2_b32 v[40:41], v1 offset0:121 offset1:242
	ds_read2_b32 v[34:35], v19 offset0:107 offset1:228
	;; [unrolled: 1-line block ×3, first 2 shown]
	v_cmp_gt_u32_e64 s[0:1], 44, v42
	v_lshlrev_b32_e32 v47, 2, v43
	v_lshlrev_b32_e32 v46, 2, v68
                                        ; implicit-def: $vgpr31
	s_and_saveexec_b64 s[36:37], s[0:1]
	s_cbranch_execz .LBB0_14
; %bb.13:
	v_add_u32_e32 v8, 0x200, v1
	v_add3_u32 v0, 0, v47, v46
	ds_read2_b32 v[24:25], v8 offset0:70 offset1:191
	v_add_u32_e32 v8, 0x600, v1
	v_add_u32_e32 v30, 0xa00, v1
	ds_read_b32 v0, v0
	ds_read2_b32 v[8:9], v8 offset0:56 offset1:177
	ds_read2_b32 v[30:31], v30 offset0:42 offset1:163
.LBB0_14:
	s_or_b64 exec, exec, s[36:37]
	v_mov_b32_e32 v52, v33
	v_mov_b32_e32 v53, v15
	v_mov_b32_e32 v54, v17
	v_mov_b32_e32 v55, v39
	v_pk_add_f32 v[56:57], v[52:53], v[54:55]
	v_pk_add_f32 v[52:53], v[52:53], v[54:55] neg_lo:[0,1] neg_hi:[0,1]
	v_mov_b32_e32 v54, v56
	v_mov_b32_e32 v55, v53
	s_mov_b32 s36, s7
	s_mov_b32 s37, s22
	v_pk_mul_f32 v[58:59], v[54:55], s[36:37]
	v_add_f32_e32 v50, v37, v7
	v_mov_b32_e32 v15, v58
	v_pk_fma_f32 v[54:55], v[54:55], s[36:37], v[14:15]
	v_sub_f32_e32 v72, v58, v59
	v_mov_b32_e32 v58, v36
	v_mov_b32_e32 v59, v14
	;; [unrolled: 1-line block ×4, first 2 shown]
	v_pk_add_f32 v[38:39], v[58:59], v[14:15]
	v_pk_add_f32 v[14:15], v[58:59], v[14:15] neg_lo:[0,1] neg_hi:[0,1]
	v_mov_b32_e32 v58, v38
	v_mov_b32_e32 v59, v15
	s_mov_b32 s36, s12
	s_mov_b32 s37, s15
	v_pk_mul_f32 v[60:61], v[58:59], s[36:37]
	v_add_f32_e32 v50, v17, v50
	v_mov_b32_e32 v17, v60
	v_pk_fma_f32 v[58:59], v[58:59], s[36:37], v[16:17]
	v_sub_f32_e32 v17, v60, v61
	v_mov_b32_e32 v60, v23
	v_mov_b32_e32 v61, v11
	v_mov_b32_e32 v62, v27
	v_mov_b32_e32 v63, v13
	v_mov_b32_e32 v51, v21
	v_sub_f32_e32 v18, v18, v20
	v_pk_add_f32 v[64:65], v[60:61], v[62:63]
	v_pk_add_f32 v[60:61], v[60:61], v[62:63] neg_lo:[0,1] neg_hi:[0,1]
	v_pk_add_f32 v[36:37], v[36:37], v[50:51]
	v_mov_b32_e32 v51, 0x3f575c64
	v_mov_b32_e32 v50, v23
	v_mul_f32_e32 v20, 0xbf0a6770, v18
	v_mov_b32_e32 v62, v64
	v_mov_b32_e32 v63, v61
	s_mov_b32 s36, s18
	s_mov_b32 s37, s24
	v_pk_add_f32 v[68:69], v[50:51], v[36:37]
	v_pk_mul_f32 v[50:51], v[50:51], v[36:37]
	v_pk_mul_f32 v[66:67], v[62:63], s[36:37]
	v_mov_b32_e32 v69, v51
	v_mov_b32_e32 v23, v20
	;; [unrolled: 1-line block ×3, first 2 shown]
	v_pk_add_f32 v[68:69], v[22:23], v[68:69]
	v_mov_b32_e32 v70, v26
	v_mov_b32_e32 v71, v7
	v_fmac_f32_e32 v51, 0x3f0a6770, v18
	v_pk_fma_f32 v[62:63], v[62:63], s[36:37], v[10:11]
	v_pk_add_f32 v[68:69], v[70:71], v[68:69]
	v_mov_b32_e32 v54, v27
	v_add_f32_e32 v11, v51, v7
	v_pk_add_f32 v[54:55], v[54:55], v[68:69]
	v_mov_b32_e32 v58, v32
	v_add_f32_e32 v11, v72, v11
	v_mov_b32_e32 v23, v10
	v_mov_b32_e32 v27, v12
	v_pk_add_f32 v[54:55], v[58:59], v[54:55]
	v_mov_b32_e32 v62, v33
	v_add_f32_e32 v11, v17, v11
	v_sub_f32_e32 v13, v66, v67
	v_pk_add_f32 v[50:51], v[22:23], v[26:27]
	v_pk_add_f32 v[22:23], v[22:23], v[26:27] neg_lo:[0,1] neg_hi:[0,1]
	v_pk_add_f32 v[32:33], v[62:63], v[54:55]
	v_add_f32_e32 v54, v13, v11
	v_mov_b32_e32 v10, v50
	v_mov_b32_e32 v11, v23
	s_mov_b32 s36, s19
	s_mov_b32 s37, s25
	v_pk_mul_f32 v[12:13], v[10:11], s[36:37]
	s_mov_b32 s23, s15
	v_mov_b32_e32 v17, v12
	v_pk_fma_f32 v[10:11], v[10:11], s[36:37], v[16:17]
	s_mov_b32 s26, s24
	v_mov_b32_e32 v10, v21
	v_pk_add_f32 v[20:21], v[10:11], v[32:33]
	v_sub_f32_e32 v10, v12, v13
	v_pk_mul_f32 v[12:13], v[18:19], s[22:23] op_sel_hi:[0,1]
	v_pk_mul_f32 v[26:27], v[52:53], s[26:27] op_sel:[1,0]
	s_mov_b32 s22, s27
	s_mov_b32 s23, s21
	v_pk_fma_f32 v[62:63], v[36:37], s[34:35], v[12:13] op_sel:[1,0,0]
	v_add_f32_e32 v10, v10, v54
	v_pk_fma_f32 v[32:33], v[56:57], s[18:19], v[26:27] op_sel_hi:[0,1,1]
	v_pk_mul_f32 v[54:55], v[14:15], s[22:23] op_sel:[1,0]
	v_pk_add_f32 v[62:63], v[62:63], v[6:7] op_sel:[0,1]
	v_pk_fma_f32 v[58:59], v[38:39], s[6:7], v[54:55] op_sel_hi:[0,1,1]
	v_pk_add_f32 v[32:33], v[32:33], v[62:63]
	s_mov_b32 s22, s28
	s_mov_b32 s23, s8
	v_pk_fma_f32 v[12:13], v[36:37], s[34:35], v[12:13] op_sel:[1,0,0] neg_lo:[0,0,1] neg_hi:[0,0,1]
	v_pk_add_f32 v[32:33], v[58:59], v[32:33]
	v_pk_mul_f32 v[58:59], v[60:61], s[22:23] op_sel:[1,0]
	v_pk_fma_f32 v[26:27], v[56:57], s[18:19], v[26:27] op_sel_hi:[0,1,1] neg_lo:[0,0,1] neg_hi:[0,0,1]
	v_pk_add_f32 v[12:13], v[12:13], v[6:7] op_sel:[0,1]
	v_pk_fma_f32 v[62:63], v[64:65], s[12:13], v[58:59] op_sel_hi:[0,1,1]
	s_mov_b32 s22, s29
	s_mov_b32 s23, s24
	v_pk_fma_f32 v[54:55], v[38:39], s[6:7], v[54:55] op_sel_hi:[0,1,1] neg_lo:[0,0,1] neg_hi:[0,0,1]
	v_pk_add_f32 v[12:13], v[26:27], v[12:13]
	v_pk_add_f32 v[32:33], v[62:63], v[32:33]
	v_pk_mul_f32 v[62:63], v[22:23], s[22:23] op_sel:[1,0]
	v_pk_add_f32 v[12:13], v[54:55], v[12:13]
	v_pk_fma_f32 v[26:27], v[64:65], s[12:13], v[58:59] op_sel_hi:[0,1,1] neg_lo:[0,0,1] neg_hi:[0,0,1]
	v_pk_add_f32 v[12:13], v[26:27], v[12:13]
	v_pk_fma_f32 v[26:27], v[50:51], s[30:31], v[62:63] op_sel_hi:[0,1,1] neg_lo:[0,0,1] neg_hi:[0,0,1]
	v_pk_add_f32 v[12:13], v[26:27], v[12:13]
	v_pk_mul_f32 v[26:27], v[18:19], s[24:25] op_sel_hi:[0,1]
	v_pk_fma_f32 v[66:67], v[50:51], s[30:31], v[62:63] op_sel_hi:[0,1,1]
	v_pk_mul_f32 v[52:53], v[52:53], s[28:29] op_sel:[1,0]
	v_pk_fma_f32 v[62:63], v[36:37], s[18:19], v[26:27] op_sel:[1,0,0]
	v_pk_fma_f32 v[54:55], v[56:57], s[12:13], v[52:53] op_sel_hi:[0,1,1]
	v_pk_mul_f32 v[14:15], v[14:15], s[8:9] op_sel:[1,0]
	v_pk_add_f32 v[62:63], v[62:63], v[6:7] op_sel:[0,1]
	v_pk_fma_f32 v[26:27], v[36:37], s[18:19], v[26:27] op_sel:[1,0,0] neg_lo:[0,0,1] neg_hi:[0,0,1]
	v_pk_fma_f32 v[58:59], v[38:39], s[30:31], v[14:15] op_sel_hi:[0,1,1]
	v_pk_add_f32 v[54:55], v[54:55], v[62:63]
	v_pk_fma_f32 v[52:53], v[56:57], s[12:13], v[52:53] op_sel_hi:[0,1,1] neg_lo:[0,0,1] neg_hi:[0,0,1]
	v_pk_add_f32 v[6:7], v[26:27], v[6:7] op_sel:[0,1]
	v_pk_add_f32 v[54:55], v[58:59], v[54:55]
	v_pk_mul_f32 v[58:59], v[60:61], s[20:21] op_sel:[1,0]
	v_pk_fma_f32 v[14:15], v[38:39], s[30:31], v[14:15] op_sel_hi:[0,1,1] neg_lo:[0,0,1] neg_hi:[0,0,1]
	v_pk_add_f32 v[6:7], v[52:53], v[6:7]
	v_pk_fma_f32 v[60:61], v[64:65], s[6:7], v[58:59] op_sel_hi:[0,1,1]
	v_pk_mul_f32 v[22:23], v[22:23], s[14:15] op_sel:[1,0]
	v_pk_add_f32 v[6:7], v[14:15], v[6:7]
	v_pk_fma_f32 v[14:15], v[64:65], s[6:7], v[58:59] op_sel_hi:[0,1,1] neg_lo:[0,0,1] neg_hi:[0,0,1]
	v_pk_add_f32 v[54:55], v[60:61], v[54:55]
	v_pk_fma_f32 v[60:61], v[50:51], s[34:35], v[22:23] op_sel_hi:[0,1,1]
	v_pk_add_f32 v[6:7], v[14:15], v[6:7]
	v_pk_fma_f32 v[14:15], v[50:51], s[34:35], v[22:23] op_sel_hi:[0,1,1] neg_lo:[0,0,1] neg_hi:[0,0,1]
	v_pk_add_f32 v[32:33], v[66:67], v[32:33]
	v_pk_add_f32 v[54:55], v[60:61], v[54:55]
	;; [unrolled: 1-line block ×3, first 2 shown]
	s_waitcnt lgkmcnt(0)
	s_barrier
	ds_write2_b32 v16, v20, v21 offset1:1
	ds_write2_b32 v16, v32, v33 offset0:2 offset1:3
	ds_write2_b32 v16, v54, v55 offset0:4 offset1:5
	;; [unrolled: 1-line block ×4, first 2 shown]
	ds_write_b32 v16, v10 offset:40
	s_waitcnt lgkmcnt(0)
	s_barrier
	ds_read_b32 v23, v45
	ds_read2_b32 v[20:21], v1 offset0:121 offset1:242
	ds_read2_b32 v[16:17], v19 offset0:107 offset1:228
	;; [unrolled: 1-line block ×3, first 2 shown]
	v_mov_b32_e32 v7, v12
                                        ; implicit-def: $vgpr19
	s_and_saveexec_b64 s[6:7], s[0:1]
	s_cbranch_execz .LBB0_16
; %bb.15:
	v_add_u32_e32 v7, 0x200, v1
	ds_read2_b32 v[26:27], v7 offset0:70 offset1:191
	v_add_u32_e32 v7, 0x600, v1
	v_add3_u32 v6, 0, v47, v46
	ds_read2_b32 v[10:11], v7 offset0:56 offset1:177
	v_add_u32_e32 v7, 0xa00, v1
	ds_read_b32 v6, v6
	ds_read2_b32 v[18:19], v7 offset0:42 offset1:163
	s_waitcnt lgkmcnt(3)
	v_mov_b32_e32 v12, v27
	v_mov_b32_e32 v13, v26
.LBB0_16:
	s_or_b64 exec, exec, s[6:7]
	s_movk_i32 s6, 0x75
	v_mul_lo_u16_sdwa v7, v42, s6 dst_sel:DWORD dst_unused:UNUSED_PAD src0_sel:BYTE_0 src1_sel:DWORD
	v_sub_u16_sdwa v22, v42, v7 dst_sel:DWORD dst_unused:UNUSED_PAD src0_sel:DWORD src1_sel:BYTE_1
	v_lshrrev_b16_e32 v22, 1, v22
	v_and_b32_e32 v22, 0x7f, v22
	v_add_u16_sdwa v7, v22, v7 dst_sel:DWORD dst_unused:UNUSED_PAD src0_sel:DWORD src1_sel:BYTE_1
	v_lshrrev_b16_e32 v49, 3, v7
	v_mul_lo_u16_e32 v7, 11, v49
	v_sub_u16_e32 v74, v42, v7
	v_mov_b32_e32 v26, 6
	v_mul_u32_u24_sdwa v7, v74, v26 dst_sel:DWORD dst_unused:UNUSED_PAD src0_sel:BYTE_0 src1_sel:DWORD
	v_lshlrev_b32_e32 v22, 3, v7
	v_mul_lo_u16_sdwa v7, v43, s6 dst_sel:DWORD dst_unused:UNUSED_PAD src0_sel:BYTE_0 src1_sel:DWORD
	v_sub_u16_sdwa v27, v43, v7 dst_sel:DWORD dst_unused:UNUSED_PAD src0_sel:DWORD src1_sel:BYTE_1
	v_lshrrev_b16_e32 v27, 1, v27
	v_and_b32_e32 v27, 0x7f, v27
	v_add_u16_sdwa v7, v27, v7 dst_sel:DWORD dst_unused:UNUSED_PAD src0_sel:DWORD src1_sel:BYTE_1
	v_lshrrev_b16_e32 v7, 3, v7
	v_mul_lo_u16_e32 v27, 11, v7
	global_load_dwordx4 v[50:53], v22, s[4:5]
	global_load_dwordx4 v[54:57], v22, s[4:5] offset:16
	global_load_dwordx4 v[58:61], v22, s[4:5] offset:32
	v_sub_u16_e32 v22, v43, v27
	v_mul_u32_u24_sdwa v26, v22, v26 dst_sel:DWORD dst_unused:UNUSED_PAD src0_sel:BYTE_0 src1_sel:DWORD
	v_lshlrev_b32_e32 v26, 3, v26
	global_load_dwordx4 v[62:65], v26, s[4:5]
	global_load_dwordx4 v[66:69], v26, s[4:5] offset:16
	global_load_dwordx4 v[70:73], v26, s[4:5] offset:32
	s_mov_b32 s8, 0x3f5ff5aa
	s_mov_b32 s9, 0x3f3bfb3b
	s_mov_b32 s12, 0xbf3bfb3b
	s_mov_b32 s13, 0xbeae86e6
	s_movk_i32 s14, 0x134
	s_waitcnt lgkmcnt(0)
	s_barrier
	s_waitcnt vmcnt(5)
	v_mul_f32_e32 v33, v20, v51
	v_mul_f32_e32 v26, v40, v51
	v_mul_f32_e32 v36, v21, v53
	v_mul_f32_e32 v27, v41, v53
	s_waitcnt vmcnt(4)
	v_mul_f32_e32 v51, v16, v55
	v_mul_f32_e32 v32, v34, v55
	v_mul_f32_e32 v53, v17, v57
	v_mul_f32_e32 v37, v35, v57
	;; [unrolled: 5-line block ×3, first 2 shown]
	v_fma_f32 v40, v40, v50, -v33
	v_fma_f32 v39, v41, v52, -v36
	v_fmac_f32_e32 v26, v20, v50
	s_waitcnt vmcnt(2)
	v_mul_f32_e32 v20, v25, v65
	s_waitcnt vmcnt(1)
	v_mul_f32_e32 v50, v10, v67
	v_fma_f32 v41, v35, v56, -v53
	s_waitcnt vmcnt(0)
	v_mul_f32_e32 v35, v30, v71
	v_fmac_f32_e32 v37, v17, v56
	v_fma_f32 v17, v28, v58, -v55
	v_fma_f32 v28, v29, v60, -v57
	v_mul_f32_e32 v59, v13, v63
	v_mul_f32_e32 v33, v24, v63
	;; [unrolled: 1-line block ×3, first 2 shown]
	v_fmac_f32_e32 v27, v21, v52
	v_mul_f32_e32 v21, v8, v67
	v_mul_f32_e32 v63, v18, v71
	v_fma_f32 v34, v34, v54, -v51
	v_fmac_f32_e32 v32, v16, v54
	v_mul_f32_e32 v16, v31, v73
	v_fmac_f32_e32 v38, v14, v58
	v_fmac_f32_e32 v43, v15, v60
	v_fmac_f32_e32 v20, v12, v64
	v_fma_f32 v12, v8, v66, -v50
	v_fmac_f32_e32 v35, v18, v70
	v_add_f32_e32 v8, v40, v28
	v_add_f32_e32 v18, v39, v17
	v_mul_f32_e32 v36, v9, v69
	v_mul_f32_e32 v51, v19, v73
	v_fma_f32 v14, v24, v62, -v59
	v_fmac_f32_e32 v33, v13, v62
	v_fma_f32 v13, v25, v64, -v61
	v_fmac_f32_e32 v16, v19, v72
	v_sub_f32_e32 v15, v26, v43
	v_sub_f32_e32 v19, v27, v38
	v_add_f32_e32 v24, v34, v41
	v_sub_f32_e32 v25, v37, v32
	v_add_f32_e32 v29, v18, v8
	v_mul_f32_e32 v52, v11, v69
	v_fmac_f32_e32 v21, v10, v66
	v_fmac_f32_e32 v36, v11, v68
	v_fma_f32 v10, v30, v70, -v63
	v_fma_f32 v11, v31, v72, -v51
	v_sub_f32_e32 v30, v18, v8
	v_sub_f32_e32 v8, v8, v24
	;; [unrolled: 1-line block ×3, first 2 shown]
	v_add_f32_e32 v31, v25, v19
	v_sub_f32_e32 v50, v25, v19
	v_sub_f32_e32 v19, v19, v15
	v_add_f32_e32 v24, v24, v29
	v_sub_f32_e32 v25, v15, v25
	v_add_f32_e32 v15, v31, v15
	v_mul_f32_e32 v8, 0x3f4a47b2, v8
	v_mul_f32_e32 v29, 0x3d64c772, v18
	;; [unrolled: 1-line block ×3, first 2 shown]
	v_add_f32_e32 v48, v48, v24
	v_mul_f32_e32 v50, 0x3f5ff5aa, v19
	v_fmamk_f32 v24, v24, 0xbf955555, v48
	v_fma_f32 v29, v30, s9, -v29
	v_fma_f32 v30, v30, s12, -v8
	v_fmac_f32_e32 v8, 0x3d64c772, v18
	v_fma_f32 v18, v19, s8, -v31
	v_fmac_f32_e32 v31, 0x3eae86e6, v25
	v_fma_f32 v19, v25, s13, -v50
	v_add_f32_e32 v8, v8, v24
	v_add_f32_e32 v25, v29, v24
	;; [unrolled: 1-line block ×3, first 2 shown]
	v_fmac_f32_e32 v31, 0x3ee1c552, v15
	v_fmac_f32_e32 v19, 0x3ee1c552, v15
	;; [unrolled: 1-line block ×3, first 2 shown]
	v_add_f32_e32 v29, v31, v8
	v_add_f32_e32 v30, v19, v24
	v_sub_f32_e32 v19, v24, v19
	v_sub_f32_e32 v24, v8, v31
	v_mov_b32_e32 v8, 2
	v_sub_f32_e32 v50, v25, v18
	v_add_f32_e32 v18, v18, v25
	v_mad_u32_u24 v15, v49, s14, 0
	v_lshlrev_b32_sdwa v25, v8, v74 dst_sel:DWORD dst_unused:UNUSED_PAD src0_sel:DWORD src1_sel:BYTE_0
	v_fma_f32 v9, v9, v68, -v52
	v_add3_u32 v15, v15, v25, v46
	ds_write2_b32 v15, v48, v29 offset1:11
	ds_write2_b32 v15, v30, v50 offset0:22 offset1:33
	ds_write2_b32 v15, v18, v19 offset0:44 offset1:55
	ds_write_b32 v15, v24 offset:264
	s_and_saveexec_b64 s[6:7], s[0:1]
	s_cbranch_execz .LBB0_18
; %bb.17:
	v_add_f32_e32 v18, v14, v11
	v_add_f32_e32 v25, v13, v10
	;; [unrolled: 1-line block ×4, first 2 shown]
	v_sub_f32_e32 v48, v36, v21
	v_sub_f32_e32 v50, v20, v35
	;; [unrolled: 1-line block ×4, first 2 shown]
	v_add_f32_e32 v19, v19, v31
	v_sub_f32_e32 v31, v33, v16
	v_sub_f32_e32 v51, v48, v50
	v_mul_f32_e32 v24, 0x3f4a47b2, v24
	v_mul_f32_e32 v30, 0x3d64c772, v29
	v_add_f32_e32 v0, v0, v19
	v_sub_f32_e32 v49, v31, v48
	v_mul_f32_e32 v51, 0xbf08b237, v51
	v_add_f32_e32 v48, v48, v50
	v_sub_f32_e32 v18, v25, v18
	v_sub_f32_e32 v25, v50, v31
	v_fmamk_f32 v29, v29, 0x3d64c772, v24
	v_fmamk_f32 v19, v19, 0xbf955555, v0
	;; [unrolled: 1-line block ×3, first 2 shown]
	v_add_f32_e32 v48, v48, v31
	v_fma_f32 v24, v18, s12, -v24
	v_mul_f32_e32 v31, 0x3f5ff5aa, v25
	v_fma_f32 v25, v25, s8, -v51
	v_fma_f32 v18, v18, s9, -v30
	v_add_f32_e32 v29, v29, v19
	v_fmac_f32_e32 v52, 0x3ee1c552, v48
	v_fmac_f32_e32 v25, 0x3ee1c552, v48
	v_add_f32_e32 v18, v18, v19
	v_sub_f32_e32 v53, v29, v52
	v_add_f32_e32 v24, v24, v19
	v_fma_f32 v31, v49, s13, -v31
	v_add_f32_e32 v19, v25, v18
	v_sub_f32_e32 v18, v18, v25
	v_add_f32_e32 v25, v52, v29
	v_mad_u32_u24 v29, v7, s14, 0
	v_lshlrev_b32_sdwa v8, v8, v22 dst_sel:DWORD dst_unused:UNUSED_PAD src0_sel:DWORD src1_sel:BYTE_0
	v_fmac_f32_e32 v31, 0x3ee1c552, v48
	v_add3_u32 v8, v29, v8, v46
	v_sub_f32_e32 v49, v24, v31
	v_add_f32_e32 v24, v31, v24
	ds_write2_b32 v8, v0, v25 offset1:11
	ds_write2_b32 v8, v24, v18 offset0:22 offset1:33
	ds_write2_b32 v8, v19, v49 offset0:44 offset1:55
	ds_write_b32 v8, v53 offset:264
.LBB0_18:
	s_or_b64 exec, exec, s[6:7]
	v_add_f32_e32 v0, v26, v43
	v_add_f32_e32 v18, v27, v38
	v_sub_f32_e32 v17, v39, v17
	v_add_f32_e32 v19, v32, v37
	v_sub_f32_e32 v24, v41, v34
	;; [unrolled: 2-line block ×3, first 2 shown]
	v_sub_f32_e32 v26, v18, v0
	v_sub_f32_e32 v0, v0, v19
	;; [unrolled: 1-line block ×3, first 2 shown]
	v_add_f32_e32 v27, v24, v17
	v_sub_f32_e32 v28, v24, v17
	v_add_f32_e32 v19, v19, v25
	v_sub_f32_e32 v24, v8, v24
	v_sub_f32_e32 v17, v17, v8
	v_add_f32_e32 v8, v27, v8
	v_add_f32_e32 v23, v23, v19
	v_mul_f32_e32 v25, 0x3d64c772, v18
	v_mul_f32_e32 v27, 0xbf08b237, v28
	;; [unrolled: 1-line block ×4, first 2 shown]
	v_fmamk_f32 v19, v19, 0xbf955555, v23
	v_fma_f32 v25, v26, s9, -v25
	v_fma_f32 v17, v17, s8, -v27
	v_fma_f32 v26, v26, s12, -v0
	v_fmac_f32_e32 v0, 0x3d64c772, v18
	v_fmac_f32_e32 v27, 0x3eae86e6, v24
	v_fma_f32 v18, v24, s13, -v28
	v_add_f32_e32 v24, v25, v19
	v_fmac_f32_e32 v17, 0x3ee1c552, v8
	v_add_f32_e32 v0, v0, v19
	v_add_f32_e32 v19, v26, v19
	v_fmac_f32_e32 v27, 0x3ee1c552, v8
	v_fmac_f32_e32 v18, 0x3ee1c552, v8
	v_add_f32_e32 v30, v17, v24
	v_sub_f32_e32 v17, v24, v17
	v_add_u32_e32 v24, 0x400, v1
	v_sub_f32_e32 v28, v0, v27
	v_sub_f32_e32 v29, v19, v18
	v_add_f32_e32 v18, v18, v19
	v_add_f32_e32 v19, v27, v0
	s_waitcnt lgkmcnt(0)
	s_barrier
	ds_read2_b32 v[26:27], v24 offset0:52 offset1:129
	v_add_u32_e32 v24, 0x600, v1
	v_add_u32_e32 v31, 0x800, v1
	ds_read_b32 v8, v45
	v_add3_u32 v0, 0, v47, v46
	ds_read2_b32 v[48:49], v1 offset0:154 offset1:231
	ds_read2_b32 v[24:25], v24 offset0:78 offset1:155
	;; [unrolled: 1-line block ×3, first 2 shown]
	ds_read_b32 v34, v0
	ds_read_b32 v32, v1 offset:3080
	s_waitcnt lgkmcnt(0)
	s_barrier
	ds_write2_b32 v15, v23, v28 offset1:11
	ds_write2_b32 v15, v29, v30 offset0:22 offset1:33
	ds_write2_b32 v15, v17, v18 offset0:44 offset1:55
	ds_write_b32 v15, v19 offset:264
	s_and_saveexec_b64 s[6:7], s[0:1]
	s_cbranch_execz .LBB0_20
; %bb.19:
	v_add_f32_e32 v15, v33, v16
	v_sub_f32_e32 v11, v14, v11
	v_add_f32_e32 v14, v20, v35
	v_sub_f32_e32 v10, v13, v10
	;; [unrolled: 2-line block ×4, first 2 shown]
	v_sub_f32_e32 v15, v15, v13
	v_sub_f32_e32 v14, v13, v14
	v_add_f32_e32 v17, v9, v10
	v_sub_f32_e32 v18, v9, v10
	v_sub_f32_e32 v9, v11, v9
	;; [unrolled: 1-line block ×3, first 2 shown]
	v_add_f32_e32 v12, v13, v12
	v_add_f32_e32 v11, v17, v11
	v_mul_f32_e32 v13, 0x3f4a47b2, v15
	v_mul_f32_e32 v15, 0x3d64c772, v14
	v_mul_f32_e32 v17, 0xbf08b237, v18
	s_mov_b32 s0, 0x3f5ff5aa
	s_mov_b32 s1, 0x3f3bfb3b
	v_add_f32_e32 v6, v6, v12
	v_mul_f32_e32 v18, 0x3f5ff5aa, v10
	v_fma_f32 v15, v16, s1, -v15
	s_mov_b32 s1, 0xbf3bfb3b
	v_fma_f32 v10, v10, s0, -v17
	s_mov_b32 s0, 0xbeae86e6
	v_fmamk_f32 v12, v12, 0xbf955555, v6
	v_fma_f32 v16, v16, s1, -v13
	v_fmac_f32_e32 v13, 0x3d64c772, v14
	v_fmamk_f32 v14, v9, 0x3eae86e6, v17
	v_fma_f32 v9, v9, s0, -v18
	v_add_f32_e32 v13, v13, v12
	v_add_f32_e32 v15, v15, v12
	;; [unrolled: 1-line block ×3, first 2 shown]
	v_fmac_f32_e32 v14, 0x3ee1c552, v11
	v_fmac_f32_e32 v9, 0x3ee1c552, v11
	v_fmac_f32_e32 v10, 0x3ee1c552, v11
	v_sub_f32_e32 v11, v13, v14
	v_sub_f32_e32 v16, v12, v9
	v_add_f32_e32 v9, v9, v12
	v_add_f32_e32 v12, v14, v13
	s_movk_i32 s0, 0x134
	v_mov_b32_e32 v13, 2
	v_mad_u32_u24 v7, v7, s0, 0
	v_lshlrev_b32_sdwa v13, v13, v22 dst_sel:DWORD dst_unused:UNUSED_PAD src0_sel:DWORD src1_sel:BYTE_0
	v_add3_u32 v7, v7, v13, v46
	v_add_f32_e32 v17, v10, v15
	v_sub_f32_e32 v10, v15, v10
	ds_write2_b32 v7, v6, v11 offset1:11
	ds_write2_b32 v7, v16, v17 offset0:22 offset1:33
	ds_write2_b32 v7, v10, v9 offset0:44 offset1:55
	ds_write_b32 v7, v12 offset:264
.LBB0_20:
	s_or_b64 exec, exec, s[6:7]
	s_waitcnt lgkmcnt(0)
	s_barrier
	s_and_saveexec_b64 s[0:1], vcc
	s_cbranch_execz .LBB0_22
; %bb.21:
	ds_read_b32 v46, v0
	ds_read_b32 v52, v1 offset:3080
	ds_read_b32 v9, v45
	v_add_u32_e32 v0, 0x800, v1
	ds_read2_b32 v[58:59], v0 offset0:104 offset1:181
	ds_read2_b32 v[60:61], v1 offset0:154 offset1:231
	v_add_u32_e32 v0, 0x600, v1
	v_mul_lo_u32 v6, s3, v4
	v_mul_lo_u32 v7, s2, v5
	v_mad_u64_u32 v[4:5], s[0:1], s2, v4, 0
	ds_read2_b32 v[40:41], v0 offset0:78 offset1:155
	v_add_u32_e32 v0, 0x400, v1
	v_add3_u32 v5, v5, v7, v6
	v_mul_u32_u24_e32 v6, 10, v42
	ds_read2_b32 v[42:43], v0 offset0:52 offset1:129
	v_mad_u64_u32 v[0:1], s[0:1], s16, v44, 0
	v_lshlrev_b32_e32 v21, 3, v6
	v_mov_b32_e32 v6, v1
	v_mad_u64_u32 v[6:7], s[0:1], s17, v44, v[6:7]
	v_lshl_add_u64 v[4:5], v[4:5], 3, s[10:11]
	v_add_u32_e32 v7, 0x4d, v44
	v_lshl_add_u64 v[22:23], v[2:3], 3, v[4:5]
	v_mad_u64_u32 v[4:5], s[0:1], s16, v7, 0
	v_mov_b32_e32 v1, v6
	v_mov_b32_e32 v6, v5
	v_mad_u64_u32 v[6:7], s[0:1], s17, v7, v[6:7]
	v_mov_b32_e32 v5, v6
	v_add_u32_e32 v7, 0x9a, v44
	v_lshl_add_u64 v[38:39], v[4:5], 3, v[22:23]
	v_mad_u64_u32 v[4:5], s[0:1], s16, v7, 0
	v_mov_b32_e32 v6, v5
	v_mad_u64_u32 v[6:7], s[0:1], s17, v7, v[6:7]
	v_mov_b32_e32 v5, v6
	v_add_u32_e32 v7, 0xe7, v44
	v_lshl_add_u64 v[36:37], v[4:5], 3, v[22:23]
	v_mad_u64_u32 v[4:5], s[0:1], s16, v7, 0
	;; [unrolled: 6-line block ×3, first 2 shown]
	v_mov_b32_e32 v6, v5
	v_mad_u64_u32 v[6:7], s[0:1], s17, v7, v[6:7]
	v_lshl_add_u64 v[30:31], v[0:1], 3, v[22:23]
	global_load_dwordx4 v[0:3], v21, s[4:5] offset:544
	global_load_dwordx4 v[62:65], v21, s[4:5] offset:528
	v_mov_b32_e32 v5, v6
	v_add_u32_e32 v7, 0x181, v44
	v_lshl_add_u64 v[18:19], v[4:5], 3, v[22:23]
	v_mad_u64_u32 v[4:5], s[0:1], s16, v7, 0
	v_mov_b32_e32 v6, v5
	v_mad_u64_u32 v[6:7], s[0:1], s17, v7, v[6:7]
	global_load_dwordx4 v[66:69], v21, s[4:5] offset:592
	v_mov_b32_e32 v5, v6
	v_add_u32_e32 v7, 0x1ce, v44
	v_lshl_add_u64 v[10:11], v[4:5], 3, v[22:23]
	v_mad_u64_u32 v[4:5], s[0:1], s16, v7, 0
	v_mov_b32_e32 v6, v5
	global_load_dwordx4 v[70:73], v21, s[4:5] offset:576
	v_mad_u64_u32 v[6:7], s[0:1], s17, v7, v[6:7]
	v_mov_b32_e32 v5, v6
	v_add_u32_e32 v7, 0x21b, v44
	v_lshl_add_u64 v[12:13], v[4:5], 3, v[22:23]
	v_mad_u64_u32 v[4:5], s[0:1], s16, v7, 0
	v_mov_b32_e32 v6, v5
	v_mad_u64_u32 v[6:7], s[0:1], s17, v7, v[6:7]
	v_mov_b32_e32 v5, v6
	v_lshl_add_u64 v[14:15], v[4:5], 3, v[22:23]
	global_load_dwordx4 v[4:7], v21, s[4:5] offset:560
	v_add_u32_e32 v33, 0x268, v44
	v_mad_u64_u32 v[16:17], s[0:1], s16, v33, 0
	v_mov_b32_e32 v20, v17
	v_mad_u64_u32 v[20:21], s[0:1], s17, v33, v[20:21]
	v_add_u32_e32 v33, 0x2b5, v44
	v_mov_b32_e32 v17, v20
	v_mad_u64_u32 v[20:21], s[0:1], s16, v33, 0
	v_mov_b32_e32 v54, v21
	v_mad_u64_u32 v[54:55], s[0:1], s17, v33, v[54:55]
	v_add_u32_e32 v33, 0x302, v44
	v_mad_u64_u32 v[44:45], s[0:1], s16, v33, 0
	v_mov_b32_e32 v21, v54
	v_mov_b32_e32 v54, v45
	v_mad_u64_u32 v[54:55], s[0:1], s17, v33, v[54:55]
	v_mov_b32_e32 v45, v54
	v_lshl_add_u64 v[16:17], v[16:17], 3, v[22:23]
	v_lshl_add_u64 v[20:21], v[20:21], 3, v[22:23]
	v_lshl_add_u64 v[22:23], v[44:45], 3, v[22:23]
	s_mov_b32 s12, 0xbf0a6770
	s_mov_b32 s4, 0x3f575c64
	;; [unrolled: 1-line block ×12, first 2 shown]
	s_waitcnt vmcnt(3) lgkmcnt(6)
	v_pk_mul_f32 v[44:45], v[46:47], v[62:63] op_sel:[0,1] op_sel_hi:[0,0]
	v_pk_fma_f32 v[54:55], v[34:35], v[62:63], v[44:45] neg_lo:[0,0,1] neg_hi:[0,0,1]
	v_pk_fma_f32 v[34:35], v[34:35], v[62:63], v[44:45] op_sel_hi:[0,1,1]
	v_mov_b32_e32 v44, v65
	v_mov_b32_e32 v45, v64
	s_waitcnt lgkmcnt(2)
	v_pk_mul_f32 v[44:45], v[60:61], v[44:45] op_sel_hi:[0,1]
	v_pk_fma_f32 v[56:57], v[48:49], v[64:65], v[44:45] neg_lo:[0,0,1] neg_hi:[0,0,1]
	v_pk_fma_f32 v[44:45], v[48:49], v[64:65], v[44:45] op_sel_hi:[0,1,1]
	v_mov_b32_e32 v48, v59
	v_mov_b32_e32 v44, v51
	;; [unrolled: 1-line block ×3, first 2 shown]
	s_waitcnt vmcnt(2)
	v_pk_mul_f32 v[64:65], v[48:49], v[66:67] op_sel:[0,1] op_sel_hi:[0,0]
	v_mov_b32_e32 v60, v61
	v_mov_b32_e32 v57, v45
	v_pk_fma_f32 v[62:63], v[44:45], v[66:67], v[64:65] neg_lo:[0,0,1] neg_hi:[0,0,1]
	v_pk_fma_f32 v[44:45], v[46:47], v[66:67], v[64:65] op_sel_hi:[0,1,1]
	v_mov_b32_e32 v48, v49
	v_mov_b32_e32 v64, v49
	v_pk_mul_f32 v[66:67], v[60:61], v[0:1] op_sel:[0,1] op_sel_hi:[0,0]
	v_pk_fma_f32 v[60:61], v[48:49], v[0:1], v[66:67] neg_lo:[0,0,1] neg_hi:[0,0,1]
	v_pk_fma_f32 v[0:1], v[64:65], v[0:1], v[66:67] op_sel_hi:[0,1,1]
	v_mov_b32_e32 v61, v1
	s_waitcnt vmcnt(1)
	v_mov_b32_e32 v0, v73
	v_mov_b32_e32 v1, v72
	v_pk_mul_f32 v[0:1], v[58:59], v[0:1] op_sel_hi:[0,1]
	v_pk_fma_f32 v[58:59], v[50:51], v[72:73], v[0:1] neg_lo:[0,0,1] neg_hi:[0,0,1]
	v_pk_fma_f32 v[0:1], v[50:51], v[72:73], v[0:1] op_sel_hi:[0,1,1]
	v_mov_b32_e32 v50, v3
	v_mov_b32_e32 v51, v2
	;; [unrolled: 1-line block ×5, first 2 shown]
	s_waitcnt lgkmcnt(0)
	v_pk_mul_f32 v[50:51], v[42:43], v[50:51] op_sel_hi:[0,1]
	v_pk_mul_f32 v[34:35], v[52:53], v[34:35] op_sel_hi:[0,1]
	v_pk_fma_f32 v[64:65], v[26:27], v[2:3], v[50:51] neg_lo:[0,0,1] neg_hi:[0,0,1]
	v_pk_fma_f32 v[2:3], v[26:27], v[2:3], v[50:51] op_sel_hi:[0,1,1]
	v_mov_b32_e32 v42, v41
	v_pk_fma_f32 v[52:53], v[32:33], v[68:69], v[34:35] neg_lo:[0,0,1] neg_hi:[0,0,1]
	v_pk_fma_f32 v[32:33], v[32:33], v[68:69], v[34:35] op_sel_hi:[0,1,1]
	v_mov_b32_e32 v2, v25
	v_mov_b32_e32 v26, v25
	v_pk_mul_f32 v[50:51], v[42:43], v[70:71] op_sel:[0,1] op_sel_hi:[0,0]
	v_mov_b32_e32 v68, v43
	v_mov_b32_e32 v65, v3
	v_pk_fma_f32 v[66:67], v[2:3], v[70:71], v[50:51] neg_lo:[0,0,1] neg_hi:[0,0,1]
	v_pk_fma_f32 v[2:3], v[26:27], v[70:71], v[50:51] op_sel_hi:[0,1,1]
	v_mov_b32_e32 v26, v27
	v_mov_b32_e32 v42, v27
	s_waitcnt vmcnt(0)
	v_pk_mul_f32 v[68:69], v[68:69], v[4:5] op_sel:[0,1] op_sel_hi:[0,0]
	v_pk_fma_f32 v[26:27], v[26:27], v[4:5], v[68:69] neg_lo:[0,0,1] neg_hi:[0,0,1]
	v_pk_fma_f32 v[4:5], v[42:43], v[4:5], v[68:69] op_sel_hi:[0,1,1]
	v_mov_b32_e32 v27, v5
	v_mov_b32_e32 v4, v7
	;; [unrolled: 1-line block ×4, first 2 shown]
	v_pk_mul_f32 v[4:5], v[40:41], v[4:5] op_sel_hi:[0,1]
	v_pk_add_f32 v[34:35], v[54:55], v[52:53] neg_lo:[0,1] neg_hi:[0,1]
	v_mov_b32_e32 v63, v45
	v_pk_fma_f32 v[40:41], v[24:25], v[6:7], v[4:5] neg_lo:[0,0,1] neg_hi:[0,0,1]
	v_pk_fma_f32 v[4:5], v[24:25], v[6:7], v[4:5] op_sel_hi:[0,1,1]
	v_pk_add_f32 v[32:33], v[52:53], v[54:55]
	v_pk_add_f32 v[46:47], v[56:57], v[62:63] neg_lo:[0,1] neg_hi:[0,1]
	v_mov_b32_e32 v41, v5
	v_pk_mul_f32 v[4:5], v[34:35], s[12:13] op_sel:[1,0] op_sel_hi:[0,0]
	v_pk_add_f32 v[44:45], v[62:63], v[56:57]
	v_mov_b32_e32 v59, v1
	v_pk_mul_f32 v[6:7], v[46:47], s[18:19] op_sel:[1,0] op_sel_hi:[0,0]
	v_pk_fma_f32 v[42:43], v[32:33], s[4:5], v[4:5] op_sel_hi:[1,0,1]
	v_pk_fma_f32 v[68:69], v[32:33], s[4:5], v[4:5] op_sel_hi:[1,0,1] neg_lo:[0,0,1] neg_hi:[0,0,1]
	v_pk_add_f32 v[48:49], v[60:61], v[58:59] neg_lo:[0,1] neg_hi:[0,1]
	v_mov_b32_e32 v4, v42
	v_mov_b32_e32 v5, v69
	v_pk_fma_f32 v[70:71], v[44:45], s[0:1], v[6:7] op_sel_hi:[1,0,1]
	v_pk_fma_f32 v[6:7], v[44:45], s[0:1], v[6:7] op_sel_hi:[1,0,1] neg_lo:[0,0,1] neg_hi:[0,0,1]
	v_pk_add_f32 v[0:1], v[58:59], v[60:61]
	v_pk_mul_f32 v[24:25], v[48:49], s[8:9] op_sel:[1,0] op_sel_hi:[0,0]
	v_pk_add_f32 v[4:5], v[8:9], v[4:5]
	v_mov_b32_e32 v72, v70
	v_mov_b32_e32 v73, v7
	;; [unrolled: 1-line block ×3, first 2 shown]
	v_pk_add_f32 v[4:5], v[4:5], v[72:73]
	v_pk_fma_f32 v[72:73], v[0:1], s[2:3], v[24:25] op_sel_hi:[1,0,1]
	v_pk_fma_f32 v[24:25], v[0:1], s[2:3], v[24:25] op_sel_hi:[1,0,1] neg_lo:[0,0,1] neg_hi:[0,0,1]
	v_pk_add_f32 v[50:51], v[64:65], v[66:67] neg_lo:[0,1] neg_hi:[0,1]
	v_mov_b32_e32 v74, v72
	v_mov_b32_e32 v75, v25
	v_pk_add_f32 v[54:55], v[8:9], v[54:55]
	v_pk_add_f32 v[2:3], v[66:67], v[64:65]
	;; [unrolled: 1-line block ×3, first 2 shown]
	v_pk_mul_f32 v[74:75], v[50:51], s[10:11] op_sel:[1,0] op_sel_hi:[0,0]
	v_pk_add_f32 v[54:55], v[54:55], v[56:57]
	v_pk_fma_f32 v[76:77], v[2:3], s[6:7], v[74:75] op_sel_hi:[1,0,1]
	v_pk_fma_f32 v[74:75], v[2:3], s[6:7], v[74:75] op_sel_hi:[1,0,1] neg_lo:[0,0,1] neg_hi:[0,0,1]
	v_pk_add_f32 v[54:55], v[54:55], v[60:61]
	v_mov_b32_e32 v78, v76
	v_mov_b32_e32 v79, v75
	v_pk_add_f32 v[54:55], v[54:55], v[64:65]
	v_pk_add_f32 v[4:5], v[4:5], v[78:79]
	;; [unrolled: 1-line block ×3, first 2 shown]
	v_pk_add_f32 v[80:81], v[26:27], v[40:41] neg_lo:[0,1] neg_hi:[0,1]
	v_pk_add_f32 v[26:27], v[54:55], v[26:27]
	v_mov_b32_e32 v69, v43
	v_pk_add_f32 v[26:27], v[40:41], v[26:27]
	v_mov_b32_e32 v7, v71
	v_pk_add_f32 v[26:27], v[66:67], v[26:27]
	v_pk_mul_f32 v[82:83], v[80:81], s[16:17] op_sel:[1,0] op_sel_hi:[0,0]
	v_pk_add_f32 v[26:27], v[58:59], v[26:27]
	v_mov_b32_e32 v25, v73
	v_pk_add_f32 v[26:27], v[62:63], v[26:27]
	v_pk_fma_f32 v[84:85], v[78:79], s[14:15], v[82:83] op_sel_hi:[1,0,1]
	v_pk_add_f32 v[26:27], v[52:53], v[26:27]
	global_store_dwordx2 v[30:31], v[26:27], off
	v_pk_add_f32 v[26:27], v[8:9], v[68:69]
	v_pk_fma_f32 v[82:83], v[78:79], s[14:15], v[82:83] op_sel_hi:[1,0,1] neg_lo:[0,0,1] neg_hi:[0,0,1]
	v_pk_add_f32 v[6:7], v[26:27], v[6:7]
	v_mov_b32_e32 v75, v77
	v_pk_add_f32 v[6:7], v[6:7], v[24:25]
	v_mov_b32_e32 v87, v83
	;; [unrolled: 2-line block ×3, first 2 shown]
	v_pk_add_f32 v[6:7], v[6:7], v[82:83]
	global_store_dwordx2 v[38:39], v[6:7], off
	v_pk_mul_f32 v[6:7], v[34:35], s[18:19] op_sel:[1,0] op_sel_hi:[0,0]
	v_pk_fma_f32 v[24:25], v[32:33], s[0:1], v[6:7] op_sel_hi:[1,0,1]
	v_pk_fma_f32 v[6:7], v[32:33], s[0:1], v[6:7] op_sel_hi:[1,0,1] neg_lo:[0,0,1] neg_hi:[0,0,1]
	v_pk_mul_f32 v[30:31], v[46:47], s[10:11] op_sel:[1,0] op_sel_hi:[0,0]
	v_mov_b32_e32 v26, v24
	v_mov_b32_e32 v27, v7
	v_pk_fma_f32 v[38:39], v[44:45], s[6:7], v[30:31] op_sel_hi:[1,0,1]
	v_pk_fma_f32 v[30:31], v[44:45], s[6:7], v[30:31] op_sel_hi:[1,0,1] neg_lo:[0,0,1] neg_hi:[0,0,1]
	v_pk_add_f32 v[26:27], v[8:9], v[26:27]
	v_mov_b32_e32 v40, v38
	v_mov_b32_e32 v41, v31
	v_pk_add_f32 v[26:27], v[26:27], v[40:41]
	v_pk_mul_f32 v[40:41], v[48:49], s[20:21] op_sel:[1,0] op_sel_hi:[0,0]
	v_pk_fma_f32 v[42:43], v[0:1], s[14:15], v[40:41] op_sel_hi:[1,0,1]
	v_pk_fma_f32 v[40:41], v[0:1], s[14:15], v[40:41] op_sel_hi:[1,0,1] neg_lo:[0,0,1] neg_hi:[0,0,1]
	v_mov_b32_e32 v52, v42
	v_mov_b32_e32 v53, v41
	v_pk_add_f32 v[26:27], v[26:27], v[52:53]
	v_pk_mul_f32 v[52:53], v[50:51], s[22:23] op_sel:[1,0] op_sel_hi:[0,0]
	v_pk_fma_f32 v[54:55], v[2:3], s[2:3], v[52:53] op_sel_hi:[1,0,1]
	v_pk_fma_f32 v[52:53], v[2:3], s[2:3], v[52:53] op_sel_hi:[1,0,1] neg_lo:[0,0,1] neg_hi:[0,0,1]
	v_mov_b32_e32 v7, v25
	v_mov_b32_e32 v56, v54
	;; [unrolled: 1-line block ×3, first 2 shown]
	s_mov_b32 s18, 0x3f0a6770
	v_pk_add_f32 v[6:7], v[8:9], v[6:7]
	v_mov_b32_e32 v31, v39
	v_pk_add_f32 v[26:27], v[26:27], v[56:57]
	v_pk_mul_f32 v[56:57], v[80:81], s[18:19] op_sel:[1,0] op_sel_hi:[0,0]
	v_pk_add_f32 v[6:7], v[6:7], v[30:31]
	v_mov_b32_e32 v41, v43
	v_pk_fma_f32 v[58:59], v[78:79], s[4:5], v[56:57] op_sel_hi:[1,0,1]
	v_pk_fma_f32 v[56:57], v[78:79], s[4:5], v[56:57] op_sel_hi:[1,0,1] neg_lo:[0,0,1] neg_hi:[0,0,1]
	v_pk_add_f32 v[6:7], v[6:7], v[40:41]
	v_mov_b32_e32 v53, v55
	v_mov_b32_e32 v61, v57
	v_pk_add_f32 v[6:7], v[6:7], v[52:53]
	v_mov_b32_e32 v57, v59
	v_pk_add_f32 v[6:7], v[6:7], v[56:57]
	global_store_dwordx2 v[36:37], v[6:7], off
	v_pk_mul_f32 v[6:7], v[34:35], s[8:9] op_sel:[1,0] op_sel_hi:[0,0]
	v_pk_fma_f32 v[24:25], v[32:33], s[2:3], v[6:7] op_sel_hi:[1,0,1]
	v_pk_fma_f32 v[6:7], v[32:33], s[2:3], v[6:7] op_sel_hi:[1,0,1] neg_lo:[0,0,1] neg_hi:[0,0,1]
	v_pk_mul_f32 v[36:37], v[46:47], s[20:21] op_sel:[1,0] op_sel_hi:[0,0]
	v_mov_b32_e32 v30, v24
	v_mov_b32_e32 v31, v7
	v_pk_fma_f32 v[38:39], v[44:45], s[14:15], v[36:37] op_sel_hi:[1,0,1]
	v_pk_fma_f32 v[36:37], v[44:45], s[14:15], v[36:37] op_sel_hi:[1,0,1] neg_lo:[0,0,1] neg_hi:[0,0,1]
	v_pk_add_f32 v[30:31], v[8:9], v[30:31]
	v_mov_b32_e32 v40, v38
	v_mov_b32_e32 v41, v37
	s_mov_b32 s20, 0x3f68dda4
	v_pk_add_f32 v[30:31], v[30:31], v[40:41]
	v_pk_mul_f32 v[40:41], v[48:49], s[20:21] op_sel:[1,0] op_sel_hi:[0,0]
	v_pk_fma_f32 v[42:43], v[0:1], s[0:1], v[40:41] op_sel_hi:[1,0,1]
	v_pk_fma_f32 v[40:41], v[0:1], s[0:1], v[40:41] op_sel_hi:[1,0,1] neg_lo:[0,0,1] neg_hi:[0,0,1]
	v_mov_b32_e32 v52, v42
	v_mov_b32_e32 v53, v41
	v_pk_add_f32 v[30:31], v[30:31], v[52:53]
	v_pk_mul_f32 v[52:53], v[50:51], s[12:13] op_sel:[1,0] op_sel_hi:[0,0]
	v_pk_fma_f32 v[54:55], v[2:3], s[4:5], v[52:53] op_sel_hi:[1,0,1]
	v_pk_fma_f32 v[52:53], v[2:3], s[4:5], v[52:53] op_sel_hi:[1,0,1] neg_lo:[0,0,1] neg_hi:[0,0,1]
	v_mov_b32_e32 v7, v25
	v_mov_b32_e32 v56, v54
	;; [unrolled: 1-line block ×3, first 2 shown]
	v_pk_add_f32 v[6:7], v[8:9], v[6:7]
	v_mov_b32_e32 v37, v39
	v_pk_add_f32 v[30:31], v[30:31], v[56:57]
	v_pk_mul_f32 v[56:57], v[80:81], s[10:11] op_sel:[1,0] op_sel_hi:[0,0]
	v_pk_add_f32 v[6:7], v[6:7], v[36:37]
	v_mov_b32_e32 v41, v43
	v_mov_b32_e32 v60, v58
	v_pk_fma_f32 v[58:59], v[78:79], s[6:7], v[56:57] op_sel_hi:[1,0,1]
	v_pk_fma_f32 v[56:57], v[78:79], s[6:7], v[56:57] op_sel_hi:[1,0,1] neg_lo:[0,0,1] neg_hi:[0,0,1]
	v_pk_add_f32 v[6:7], v[6:7], v[40:41]
	v_mov_b32_e32 v53, v55
	v_pk_add_f32 v[26:27], v[26:27], v[60:61]
	v_mov_b32_e32 v61, v57
	;; [unrolled: 2-line block ×3, first 2 shown]
	v_pk_add_f32 v[6:7], v[6:7], v[56:57]
	global_store_dwordx2 v[28:29], v[6:7], off
	v_pk_mul_f32 v[6:7], v[34:35], s[10:11] op_sel:[1,0] op_sel_hi:[0,0]
	v_pk_fma_f32 v[24:25], v[32:33], s[6:7], v[6:7] op_sel_hi:[1,0,1]
	v_pk_fma_f32 v[6:7], v[32:33], s[6:7], v[6:7] op_sel_hi:[1,0,1] neg_lo:[0,0,1] neg_hi:[0,0,1]
	v_pk_mul_f32 v[36:37], v[46:47], s[22:23] op_sel:[1,0] op_sel_hi:[0,0]
	v_mov_b32_e32 v28, v24
	v_mov_b32_e32 v29, v7
	v_pk_fma_f32 v[38:39], v[44:45], s[2:3], v[36:37] op_sel_hi:[1,0,1]
	v_pk_fma_f32 v[36:37], v[44:45], s[2:3], v[36:37] op_sel_hi:[1,0,1] neg_lo:[0,0,1] neg_hi:[0,0,1]
	v_pk_add_f32 v[28:29], v[8:9], v[28:29]
	v_mov_b32_e32 v40, v38
	v_mov_b32_e32 v41, v37
	v_pk_add_f32 v[28:29], v[28:29], v[40:41]
	v_pk_mul_f32 v[40:41], v[48:49], s[12:13] op_sel:[1,0] op_sel_hi:[0,0]
	v_pk_fma_f32 v[42:43], v[0:1], s[4:5], v[40:41] op_sel_hi:[1,0,1]
	v_pk_fma_f32 v[40:41], v[0:1], s[4:5], v[40:41] op_sel_hi:[1,0,1] neg_lo:[0,0,1] neg_hi:[0,0,1]
	v_mov_b32_e32 v52, v42
	v_mov_b32_e32 v53, v41
	v_pk_add_f32 v[28:29], v[28:29], v[52:53]
	v_pk_mul_f32 v[52:53], v[50:51], s[16:17] op_sel:[1,0] op_sel_hi:[0,0]
	v_pk_fma_f32 v[54:55], v[2:3], s[14:15], v[52:53] op_sel_hi:[1,0,1]
	v_pk_fma_f32 v[52:53], v[2:3], s[14:15], v[52:53] op_sel_hi:[1,0,1] neg_lo:[0,0,1] neg_hi:[0,0,1]
	v_mov_b32_e32 v7, v25
	v_mov_b32_e32 v56, v54
	;; [unrolled: 1-line block ×3, first 2 shown]
	v_pk_add_f32 v[6:7], v[8:9], v[6:7]
	v_mov_b32_e32 v37, v39
	v_pk_add_f32 v[28:29], v[28:29], v[56:57]
	v_pk_mul_f32 v[56:57], v[80:81], s[20:21] op_sel:[1,0] op_sel_hi:[0,0]
	v_pk_add_f32 v[6:7], v[6:7], v[36:37]
	v_mov_b32_e32 v41, v43
	v_mov_b32_e32 v60, v58
	v_pk_fma_f32 v[58:59], v[78:79], s[0:1], v[56:57] op_sel_hi:[1,0,1]
	v_pk_fma_f32 v[56:57], v[78:79], s[0:1], v[56:57] op_sel_hi:[1,0,1] neg_lo:[0,0,1] neg_hi:[0,0,1]
	v_pk_add_f32 v[6:7], v[6:7], v[40:41]
	v_mov_b32_e32 v53, v55
	v_pk_add_f32 v[30:31], v[30:31], v[60:61]
	v_mov_b32_e32 v61, v57
	;; [unrolled: 2-line block ×3, first 2 shown]
	v_pk_add_f32 v[6:7], v[6:7], v[56:57]
	global_store_dwordx2 v[18:19], v[6:7], off
	v_pk_mul_f32 v[6:7], v[34:35], s[16:17] op_sel:[1,0] op_sel_hi:[0,0]
	v_pk_mul_f32 v[18:19], v[46:47], s[18:19] op_sel:[1,0] op_sel_hi:[0,0]
	v_pk_fma_f32 v[38:39], v[32:33], s[14:15], v[6:7] op_sel_hi:[1,0,1]
	v_pk_fma_f32 v[6:7], v[32:33], s[14:15], v[6:7] op_sel_hi:[1,0,1] neg_lo:[0,0,1] neg_hi:[0,0,1]
	v_mov_b32_e32 v32, v38
	v_mov_b32_e32 v33, v7
	v_pk_fma_f32 v[40:41], v[44:45], s[4:5], v[18:19] op_sel_hi:[1,0,1]
	v_pk_fma_f32 v[18:19], v[44:45], s[4:5], v[18:19] op_sel_hi:[1,0,1] neg_lo:[0,0,1] neg_hi:[0,0,1]
	v_pk_mul_f32 v[24:25], v[48:49], s[10:11] op_sel:[1,0] op_sel_hi:[0,0]
	v_pk_add_f32 v[32:33], v[8:9], v[32:33]
	v_mov_b32_e32 v42, v40
	v_mov_b32_e32 v43, v19
	v_pk_add_f32 v[32:33], v[32:33], v[42:43]
	v_pk_fma_f32 v[42:43], v[0:1], s[6:7], v[24:25] op_sel_hi:[1,0,1]
	v_pk_fma_f32 v[0:1], v[0:1], s[6:7], v[24:25] op_sel_hi:[1,0,1] neg_lo:[0,0,1] neg_hi:[0,0,1]
	v_pk_mul_f32 v[34:35], v[50:51], s[20:21] op_sel:[1,0] op_sel_hi:[0,0]
	v_mov_b32_e32 v24, v42
	v_mov_b32_e32 v25, v1
	;; [unrolled: 1-line block ×3, first 2 shown]
	v_pk_add_f32 v[24:25], v[32:33], v[24:25]
	v_pk_fma_f32 v[32:33], v[2:3], s[0:1], v[34:35] op_sel_hi:[1,0,1]
	v_pk_fma_f32 v[2:3], v[2:3], s[0:1], v[34:35] op_sel_hi:[1,0,1] neg_lo:[0,0,1] neg_hi:[0,0,1]
	v_pk_add_f32 v[6:7], v[8:9], v[6:7]
	v_mov_b32_e32 v19, v41
	v_pk_mul_f32 v[36:37], v[80:81], s[8:9] op_sel:[1,0] op_sel_hi:[0,0]
	v_mov_b32_e32 v34, v32
	v_mov_b32_e32 v35, v3
	v_pk_add_f32 v[6:7], v[6:7], v[18:19]
	v_mov_b32_e32 v1, v43
	v_pk_add_f32 v[24:25], v[24:25], v[34:35]
	v_pk_fma_f32 v[34:35], v[78:79], s[2:3], v[36:37] op_sel_hi:[1,0,1]
	v_pk_fma_f32 v[36:37], v[78:79], s[2:3], v[36:37] op_sel_hi:[1,0,1] neg_lo:[0,0,1] neg_hi:[0,0,1]
	v_pk_add_f32 v[0:1], v[6:7], v[0:1]
	v_mov_b32_e32 v3, v33
	v_mov_b32_e32 v45, v37
	v_pk_add_f32 v[0:1], v[0:1], v[2:3]
	v_mov_b32_e32 v37, v35
	v_mov_b32_e32 v86, v84
	;; [unrolled: 1-line block ×4, first 2 shown]
	v_pk_add_f32 v[0:1], v[0:1], v[36:37]
	v_pk_add_f32 v[4:5], v[4:5], v[86:87]
	;; [unrolled: 1-line block ×4, first 2 shown]
	global_store_dwordx2 v[10:11], v[0:1], off
	global_store_dwordx2 v[12:13], v[24:25], off
	;; [unrolled: 1-line block ×6, first 2 shown]
.LBB0_22:
	s_endpgm
	.section	.rodata,"a",@progbits
	.p2align	6, 0x0
	.amdhsa_kernel fft_rtc_fwd_len847_factors_11_7_11_wgs_231_tpt_77_halfLds_sp_op_CI_CI_sbrr_dirReg
		.amdhsa_group_segment_fixed_size 0
		.amdhsa_private_segment_fixed_size 0
		.amdhsa_kernarg_size 104
		.amdhsa_user_sgpr_count 2
		.amdhsa_user_sgpr_dispatch_ptr 0
		.amdhsa_user_sgpr_queue_ptr 0
		.amdhsa_user_sgpr_kernarg_segment_ptr 1
		.amdhsa_user_sgpr_dispatch_id 0
		.amdhsa_user_sgpr_kernarg_preload_length 0
		.amdhsa_user_sgpr_kernarg_preload_offset 0
		.amdhsa_user_sgpr_private_segment_size 0
		.amdhsa_uses_dynamic_stack 0
		.amdhsa_enable_private_segment 0
		.amdhsa_system_sgpr_workgroup_id_x 1
		.amdhsa_system_sgpr_workgroup_id_y 0
		.amdhsa_system_sgpr_workgroup_id_z 0
		.amdhsa_system_sgpr_workgroup_info 0
		.amdhsa_system_vgpr_workitem_id 0
		.amdhsa_next_free_vgpr 88
		.amdhsa_next_free_sgpr 38
		.amdhsa_accum_offset 88
		.amdhsa_reserve_vcc 1
		.amdhsa_float_round_mode_32 0
		.amdhsa_float_round_mode_16_64 0
		.amdhsa_float_denorm_mode_32 3
		.amdhsa_float_denorm_mode_16_64 3
		.amdhsa_dx10_clamp 1
		.amdhsa_ieee_mode 1
		.amdhsa_fp16_overflow 0
		.amdhsa_tg_split 0
		.amdhsa_exception_fp_ieee_invalid_op 0
		.amdhsa_exception_fp_denorm_src 0
		.amdhsa_exception_fp_ieee_div_zero 0
		.amdhsa_exception_fp_ieee_overflow 0
		.amdhsa_exception_fp_ieee_underflow 0
		.amdhsa_exception_fp_ieee_inexact 0
		.amdhsa_exception_int_div_zero 0
	.end_amdhsa_kernel
	.text
.Lfunc_end0:
	.size	fft_rtc_fwd_len847_factors_11_7_11_wgs_231_tpt_77_halfLds_sp_op_CI_CI_sbrr_dirReg, .Lfunc_end0-fft_rtc_fwd_len847_factors_11_7_11_wgs_231_tpt_77_halfLds_sp_op_CI_CI_sbrr_dirReg
                                        ; -- End function
	.section	.AMDGPU.csdata,"",@progbits
; Kernel info:
; codeLenInByte = 8768
; NumSgprs: 44
; NumVgprs: 88
; NumAgprs: 0
; TotalNumVgprs: 88
; ScratchSize: 0
; MemoryBound: 0
; FloatMode: 240
; IeeeMode: 1
; LDSByteSize: 0 bytes/workgroup (compile time only)
; SGPRBlocks: 5
; VGPRBlocks: 10
; NumSGPRsForWavesPerEU: 44
; NumVGPRsForWavesPerEU: 88
; AccumOffset: 88
; Occupancy: 5
; WaveLimiterHint : 1
; COMPUTE_PGM_RSRC2:SCRATCH_EN: 0
; COMPUTE_PGM_RSRC2:USER_SGPR: 2
; COMPUTE_PGM_RSRC2:TRAP_HANDLER: 0
; COMPUTE_PGM_RSRC2:TGID_X_EN: 1
; COMPUTE_PGM_RSRC2:TGID_Y_EN: 0
; COMPUTE_PGM_RSRC2:TGID_Z_EN: 0
; COMPUTE_PGM_RSRC2:TIDIG_COMP_CNT: 0
; COMPUTE_PGM_RSRC3_GFX90A:ACCUM_OFFSET: 21
; COMPUTE_PGM_RSRC3_GFX90A:TG_SPLIT: 0
	.text
	.p2alignl 6, 3212836864
	.fill 256, 4, 3212836864
	.type	__hip_cuid_45e88f7a16af0c61,@object ; @__hip_cuid_45e88f7a16af0c61
	.section	.bss,"aw",@nobits
	.globl	__hip_cuid_45e88f7a16af0c61
__hip_cuid_45e88f7a16af0c61:
	.byte	0                               ; 0x0
	.size	__hip_cuid_45e88f7a16af0c61, 1

	.ident	"AMD clang version 19.0.0git (https://github.com/RadeonOpenCompute/llvm-project roc-6.4.0 25133 c7fe45cf4b819c5991fe208aaa96edf142730f1d)"
	.section	".note.GNU-stack","",@progbits
	.addrsig
	.addrsig_sym __hip_cuid_45e88f7a16af0c61
	.amdgpu_metadata
---
amdhsa.kernels:
  - .agpr_count:     0
    .args:
      - .actual_access:  read_only
        .address_space:  global
        .offset:         0
        .size:           8
        .value_kind:     global_buffer
      - .offset:         8
        .size:           8
        .value_kind:     by_value
      - .actual_access:  read_only
        .address_space:  global
        .offset:         16
        .size:           8
        .value_kind:     global_buffer
      - .actual_access:  read_only
        .address_space:  global
        .offset:         24
        .size:           8
        .value_kind:     global_buffer
      - .actual_access:  read_only
        .address_space:  global
        .offset:         32
        .size:           8
        .value_kind:     global_buffer
      - .offset:         40
        .size:           8
        .value_kind:     by_value
      - .actual_access:  read_only
        .address_space:  global
        .offset:         48
        .size:           8
        .value_kind:     global_buffer
      - .actual_access:  read_only
        .address_space:  global
        .offset:         56
        .size:           8
        .value_kind:     global_buffer
      - .offset:         64
        .size:           4
        .value_kind:     by_value
      - .actual_access:  read_only
        .address_space:  global
        .offset:         72
        .size:           8
        .value_kind:     global_buffer
      - .actual_access:  read_only
        .address_space:  global
        .offset:         80
        .size:           8
        .value_kind:     global_buffer
      - .actual_access:  read_only
        .address_space:  global
        .offset:         88
        .size:           8
        .value_kind:     global_buffer
      - .actual_access:  write_only
        .address_space:  global
        .offset:         96
        .size:           8
        .value_kind:     global_buffer
    .group_segment_fixed_size: 0
    .kernarg_segment_align: 8
    .kernarg_segment_size: 104
    .language:       OpenCL C
    .language_version:
      - 2
      - 0
    .max_flat_workgroup_size: 231
    .name:           fft_rtc_fwd_len847_factors_11_7_11_wgs_231_tpt_77_halfLds_sp_op_CI_CI_sbrr_dirReg
    .private_segment_fixed_size: 0
    .sgpr_count:     44
    .sgpr_spill_count: 0
    .symbol:         fft_rtc_fwd_len847_factors_11_7_11_wgs_231_tpt_77_halfLds_sp_op_CI_CI_sbrr_dirReg.kd
    .uniform_work_group_size: 1
    .uses_dynamic_stack: false
    .vgpr_count:     88
    .vgpr_spill_count: 0
    .wavefront_size: 64
amdhsa.target:   amdgcn-amd-amdhsa--gfx950
amdhsa.version:
  - 1
  - 2
...

	.end_amdgpu_metadata
